;; amdgpu-corpus repo=ROCm/rocFFT kind=compiled arch=gfx950 opt=O3
	.text
	.amdgcn_target "amdgcn-amd-amdhsa--gfx950"
	.amdhsa_code_object_version 6
	.protected	fft_rtc_fwd_len2916_factors_6_6_3_3_3_3_wgs_243_tpt_243_halfLds_sp_op_CI_CI_unitstride_sbrr_C2R_dirReg ; -- Begin function fft_rtc_fwd_len2916_factors_6_6_3_3_3_3_wgs_243_tpt_243_halfLds_sp_op_CI_CI_unitstride_sbrr_C2R_dirReg
	.globl	fft_rtc_fwd_len2916_factors_6_6_3_3_3_3_wgs_243_tpt_243_halfLds_sp_op_CI_CI_unitstride_sbrr_C2R_dirReg
	.p2align	8
	.type	fft_rtc_fwd_len2916_factors_6_6_3_3_3_3_wgs_243_tpt_243_halfLds_sp_op_CI_CI_unitstride_sbrr_C2R_dirReg,@function
fft_rtc_fwd_len2916_factors_6_6_3_3_3_3_wgs_243_tpt_243_halfLds_sp_op_CI_CI_unitstride_sbrr_C2R_dirReg: ; @fft_rtc_fwd_len2916_factors_6_6_3_3_3_3_wgs_243_tpt_243_halfLds_sp_op_CI_CI_unitstride_sbrr_C2R_dirReg
; %bb.0:
	s_load_dwordx4 s[4:7], s[0:1], 0x58
	s_load_dwordx4 s[8:11], s[0:1], 0x0
	;; [unrolled: 1-line block ×3, first 2 shown]
	v_mul_u32_u24_e32 v1, 0x10e, v0
	v_add_u32_sdwa v10, s2, v1 dst_sel:DWORD dst_unused:UNUSED_PAD src0_sel:DWORD src1_sel:WORD_1
	v_mov_b32_e32 v6, 0
	s_waitcnt lgkmcnt(0)
	v_cmp_lt_u64_e64 s[2:3], s[10:11], 2
	v_mov_b32_e32 v11, v6
	s_and_b64 vcc, exec, s[2:3]
	v_mov_b64_e32 v[8:9], 0
	s_cbranch_vccnz .LBB0_8
; %bb.1:
	s_load_dwordx2 s[2:3], s[0:1], 0x10
	s_add_u32 s16, s14, 8
	s_addc_u32 s17, s15, 0
	s_add_u32 s18, s12, 8
	s_addc_u32 s19, s13, 0
	s_waitcnt lgkmcnt(0)
	s_add_u32 s20, s2, 8
	v_mov_b64_e32 v[8:9], 0
	s_addc_u32 s21, s3, 0
	s_mov_b64 s[22:23], 1
	v_mov_b64_e32 v[2:3], v[8:9]
.LBB0_2:                                ; =>This Inner Loop Header: Depth=1
	s_load_dwordx2 s[24:25], s[20:21], 0x0
                                        ; implicit-def: $vgpr4_vgpr5
	s_waitcnt lgkmcnt(0)
	v_or_b32_e32 v7, s25, v11
	v_cmp_ne_u64_e32 vcc, 0, v[6:7]
	s_and_saveexec_b64 s[2:3], vcc
	s_xor_b64 s[26:27], exec, s[2:3]
	s_cbranch_execz .LBB0_4
; %bb.3:                                ;   in Loop: Header=BB0_2 Depth=1
	v_cvt_f32_u32_e32 v1, s24
	v_cvt_f32_u32_e32 v4, s25
	s_sub_u32 s2, 0, s24
	s_subb_u32 s3, 0, s25
	v_fmac_f32_e32 v1, 0x4f800000, v4
	v_rcp_f32_e32 v1, v1
	s_nop 0
	v_mul_f32_e32 v1, 0x5f7ffffc, v1
	v_mul_f32_e32 v4, 0x2f800000, v1
	v_trunc_f32_e32 v4, v4
	v_fmac_f32_e32 v1, 0xcf800000, v4
	v_cvt_u32_f32_e32 v7, v4
	v_cvt_u32_f32_e32 v1, v1
	v_mul_lo_u32 v4, s2, v7
	v_mul_hi_u32 v12, s2, v1
	v_mul_lo_u32 v5, s3, v1
	v_add_u32_e32 v12, v12, v4
	v_mul_lo_u32 v14, s2, v1
	v_add_u32_e32 v15, v12, v5
	v_mul_hi_u32 v4, v1, v14
	v_mul_hi_u32 v13, v1, v15
	v_mul_lo_u32 v12, v1, v15
	v_mov_b32_e32 v5, v6
	v_lshl_add_u64 v[4:5], v[4:5], 0, v[12:13]
	v_mul_hi_u32 v13, v7, v14
	v_mul_lo_u32 v14, v7, v14
	v_add_co_u32_e32 v4, vcc, v4, v14
	v_mul_hi_u32 v12, v7, v15
	s_nop 0
	v_addc_co_u32_e32 v4, vcc, v5, v13, vcc
	v_mov_b32_e32 v5, v6
	s_nop 0
	v_addc_co_u32_e32 v13, vcc, 0, v12, vcc
	v_mul_lo_u32 v12, v7, v15
	v_lshl_add_u64 v[4:5], v[4:5], 0, v[12:13]
	v_add_co_u32_e32 v1, vcc, v1, v4
	v_mul_lo_u32 v12, s2, v1
	s_nop 0
	v_addc_co_u32_e32 v7, vcc, v7, v5, vcc
	v_mul_lo_u32 v4, s2, v7
	v_mul_hi_u32 v5, s2, v1
	v_add_u32_e32 v4, v5, v4
	v_mul_lo_u32 v5, s3, v1
	v_add_u32_e32 v14, v4, v5
	v_mul_hi_u32 v16, v7, v12
	v_mul_lo_u32 v17, v7, v12
	v_mul_hi_u32 v5, v1, v14
	v_mul_lo_u32 v4, v1, v14
	v_mul_hi_u32 v12, v1, v12
	v_mov_b32_e32 v13, v6
	v_lshl_add_u64 v[4:5], v[12:13], 0, v[4:5]
	v_add_co_u32_e32 v4, vcc, v4, v17
	v_mul_hi_u32 v15, v7, v14
	s_nop 0
	v_addc_co_u32_e32 v4, vcc, v5, v16, vcc
	v_mul_lo_u32 v12, v7, v14
	s_nop 0
	v_addc_co_u32_e32 v13, vcc, 0, v15, vcc
	v_mov_b32_e32 v5, v6
	v_lshl_add_u64 v[4:5], v[4:5], 0, v[12:13]
	v_add_co_u32_e32 v1, vcc, v1, v4
	v_mul_hi_u32 v12, v10, v1
	s_nop 0
	v_addc_co_u32_e32 v7, vcc, v7, v5, vcc
	v_mad_u64_u32 v[4:5], s[2:3], v10, v7, 0
	v_mov_b32_e32 v13, v6
	v_lshl_add_u64 v[4:5], v[12:13], 0, v[4:5]
	v_mad_u64_u32 v[14:15], s[2:3], v11, v1, 0
	v_add_co_u32_e32 v1, vcc, v4, v14
	v_mad_u64_u32 v[12:13], s[2:3], v11, v7, 0
	s_nop 0
	v_addc_co_u32_e32 v4, vcc, v5, v15, vcc
	v_mov_b32_e32 v5, v6
	s_nop 0
	v_addc_co_u32_e32 v13, vcc, 0, v13, vcc
	v_lshl_add_u64 v[4:5], v[4:5], 0, v[12:13]
	v_mul_lo_u32 v1, s25, v4
	v_mul_lo_u32 v7, s24, v5
	v_mad_u64_u32 v[12:13], s[2:3], s24, v4, 0
	v_add3_u32 v1, v13, v7, v1
	v_sub_u32_e32 v7, v11, v1
	v_mov_b32_e32 v13, s25
	v_sub_co_u32_e32 v16, vcc, v10, v12
	v_lshl_add_u64 v[14:15], v[4:5], 0, 1
	s_nop 0
	v_subb_co_u32_e64 v7, s[2:3], v7, v13, vcc
	v_subrev_co_u32_e64 v12, s[2:3], s24, v16
	v_subb_co_u32_e32 v1, vcc, v11, v1, vcc
	s_nop 0
	v_subbrev_co_u32_e64 v7, s[2:3], 0, v7, s[2:3]
	v_cmp_le_u32_e64 s[2:3], s25, v7
	v_cmp_le_u32_e32 vcc, s25, v1
	s_nop 0
	v_cndmask_b32_e64 v13, 0, -1, s[2:3]
	v_cmp_le_u32_e64 s[2:3], s24, v12
	s_nop 1
	v_cndmask_b32_e64 v12, 0, -1, s[2:3]
	v_cmp_eq_u32_e64 s[2:3], s25, v7
	s_nop 1
	v_cndmask_b32_e64 v7, v13, v12, s[2:3]
	v_lshl_add_u64 v[12:13], v[4:5], 0, 2
	v_cmp_ne_u32_e64 s[2:3], 0, v7
	s_nop 1
	v_cndmask_b32_e64 v7, v15, v13, s[2:3]
	v_cndmask_b32_e64 v13, 0, -1, vcc
	v_cmp_le_u32_e32 vcc, s24, v16
	s_nop 1
	v_cndmask_b32_e64 v15, 0, -1, vcc
	v_cmp_eq_u32_e32 vcc, s25, v1
	s_nop 1
	v_cndmask_b32_e32 v1, v13, v15, vcc
	v_cmp_ne_u32_e32 vcc, 0, v1
	v_cndmask_b32_e64 v1, v14, v12, s[2:3]
	s_nop 0
	v_cndmask_b32_e32 v5, v5, v7, vcc
	v_cndmask_b32_e32 v4, v4, v1, vcc
.LBB0_4:                                ;   in Loop: Header=BB0_2 Depth=1
	s_andn2_saveexec_b64 s[2:3], s[26:27]
	s_cbranch_execz .LBB0_6
; %bb.5:                                ;   in Loop: Header=BB0_2 Depth=1
	v_cvt_f32_u32_e32 v1, s24
	s_sub_i32 s26, 0, s24
	v_rcp_iflag_f32_e32 v1, v1
	s_nop 0
	v_mul_f32_e32 v1, 0x4f7ffffe, v1
	v_cvt_u32_f32_e32 v1, v1
	v_mul_lo_u32 v4, s26, v1
	v_mul_hi_u32 v4, v1, v4
	v_add_u32_e32 v1, v1, v4
	v_mul_hi_u32 v1, v10, v1
	v_mul_lo_u32 v4, v1, s24
	v_sub_u32_e32 v4, v10, v4
	v_add_u32_e32 v5, 1, v1
	v_subrev_u32_e32 v7, s24, v4
	v_cmp_le_u32_e32 vcc, s24, v4
	s_nop 1
	v_cndmask_b32_e32 v4, v4, v7, vcc
	v_cndmask_b32_e32 v1, v1, v5, vcc
	v_add_u32_e32 v5, 1, v1
	v_cmp_le_u32_e32 vcc, s24, v4
	s_nop 1
	v_cndmask_b32_e32 v4, v1, v5, vcc
	v_mov_b32_e32 v5, v6
.LBB0_6:                                ;   in Loop: Header=BB0_2 Depth=1
	s_or_b64 exec, exec, s[2:3]
	v_mad_u64_u32 v[12:13], s[2:3], v4, s24, 0
	s_load_dwordx2 s[2:3], s[18:19], 0x0
	v_mul_lo_u32 v1, v5, s24
	v_mul_lo_u32 v7, v4, s25
	s_load_dwordx2 s[24:25], s[16:17], 0x0
	s_add_u32 s22, s22, 1
	v_add3_u32 v1, v13, v7, v1
	v_sub_co_u32_e32 v7, vcc, v10, v12
	s_addc_u32 s23, s23, 0
	s_nop 0
	v_subb_co_u32_e32 v1, vcc, v11, v1, vcc
	s_add_u32 s16, s16, 8
	s_waitcnt lgkmcnt(0)
	v_mul_lo_u32 v10, s2, v1
	v_mul_lo_u32 v11, s3, v7
	v_mad_u64_u32 v[8:9], s[2:3], s2, v7, v[8:9]
	s_addc_u32 s17, s17, 0
	v_add3_u32 v9, v11, v9, v10
	v_mul_lo_u32 v1, s24, v1
	v_mul_lo_u32 v10, s25, v7
	v_mad_u64_u32 v[2:3], s[2:3], s24, v7, v[2:3]
	s_add_u32 s18, s18, 8
	v_add3_u32 v3, v10, v3, v1
	s_addc_u32 s19, s19, 0
	v_mov_b64_e32 v[10:11], s[10:11]
	s_add_u32 s20, s20, 8
	v_cmp_ge_u64_e32 vcc, s[22:23], v[10:11]
	s_addc_u32 s21, s21, 0
	s_cbranch_vccnz .LBB0_9
; %bb.7:                                ;   in Loop: Header=BB0_2 Depth=1
	v_mov_b64_e32 v[10:11], v[4:5]
	s_branch .LBB0_2
.LBB0_8:
	v_mov_b64_e32 v[2:3], v[8:9]
	v_mov_b64_e32 v[4:5], v[10:11]
.LBB0_9:
	s_load_dwordx2 s[18:19], s[0:1], 0x28
	s_lshl_b64 s[16:17], s[10:11], 3
	s_add_u32 s2, s14, s16
	s_addc_u32 s3, s15, s17
                                        ; implicit-def: $vgpr6
	s_waitcnt lgkmcnt(0)
	v_cmp_gt_u64_e64 s[0:1], s[18:19], v[4:5]
	v_cmp_le_u64_e32 vcc, s[18:19], v[4:5]
	s_and_saveexec_b64 s[10:11], vcc
	s_xor_b64 s[10:11], exec, s[10:11]
; %bb.10:
	s_mov_b32 s14, 0x10db20b
	v_mul_hi_u32 v1, v0, s14
	v_mul_u32_u24_e32 v1, 0xf3, v1
	v_sub_u32_e32 v6, v0, v1
                                        ; implicit-def: $vgpr0
                                        ; implicit-def: $vgpr8_vgpr9
; %bb.11:
	s_or_saveexec_b64 s[10:11], s[10:11]
	s_load_dwordx2 s[2:3], s[2:3], 0x0
	s_xor_b64 exec, exec, s[10:11]
	s_cbranch_execz .LBB0_15
; %bb.12:
	s_add_u32 s12, s12, s16
	s_addc_u32 s13, s13, s17
	s_load_dwordx2 s[12:13], s[12:13], 0x0
	s_mov_b32 s14, 0x10db20b
	s_waitcnt lgkmcnt(0)
	v_mul_lo_u32 v1, s13, v4
	v_mul_lo_u32 v6, s12, v5
	v_mad_u64_u32 v[10:11], s[12:13], s12, v4, 0
	v_add3_u32 v11, v11, v6, v1
	v_mul_hi_u32 v1, v0, s14
	v_mul_u32_u24_e32 v1, 0xf3, v1
	v_sub_u32_e32 v6, v0, v1
	v_lshl_add_u64 v[0:1], v[10:11], 3, s[4:5]
	v_lshl_add_u64 v[8:9], v[8:9], 3, v[0:1]
	v_lshlrev_b32_e32 v0, 3, v6
	v_mov_b32_e32 v1, 0
	v_lshl_add_u64 v[10:11], v[8:9], 0, v[0:1]
	s_movk_i32 s4, 0x1000
	v_add_co_u32_e32 v12, vcc, s4, v10
	s_movk_i32 s4, 0x2000
	s_nop 0
	v_addc_co_u32_e32 v13, vcc, 0, v11, vcc
	v_add_co_u32_e32 v22, vcc, s4, v10
	s_movk_i32 s4, 0x3000
	s_nop 0
	v_addc_co_u32_e32 v23, vcc, 0, v11, vcc
	;; [unrolled: 4-line block ×3, first 2 shown]
	global_load_dwordx2 v[14:15], v[10:11], off
	global_load_dwordx2 v[16:17], v[10:11], off offset:1944
	global_load_dwordx2 v[18:19], v[10:11], off offset:3888
	;; [unrolled: 1-line block ×7, first 2 shown]
	v_add_co_u32_e32 v12, vcc, s4, v10
	s_movk_i32 s4, 0xf2
	s_nop 0
	v_addc_co_u32_e32 v13, vcc, 0, v11, vcc
	v_add_co_u32_e32 v10, vcc, 0x5000, v10
	v_add_u32_e32 v0, 0, v0
	s_nop 0
	v_addc_co_u32_e32 v11, vcc, 0, v11, vcc
	global_load_dwordx2 v[22:23], v[24:25], off offset:3264
	global_load_dwordx2 v[34:35], v[12:13], off offset:1112
	;; [unrolled: 1-line block ×4, first 2 shown]
	v_cmp_eq_u32_e32 vcc, s4, v6
	v_add_u32_e32 v7, 0xf00, v0
	v_add_u32_e32 v10, 0x1e00, v0
	;; [unrolled: 1-line block ×5, first 2 shown]
	s_waitcnt vmcnt(10)
	ds_write2_b64 v0, v[14:15], v[16:17] offset1:243
	s_waitcnt vmcnt(8)
	ds_write2_b64 v7, v[18:19], v[20:21] offset0:6 offset1:249
	s_waitcnt vmcnt(6)
	ds_write2_b64 v10, v[26:27], v[28:29] offset0:12 offset1:255
	;; [unrolled: 2-line block ×5, first 2 shown]
	s_and_saveexec_b64 s[4:5], vcc
	s_cbranch_execz .LBB0_14
; %bb.13:
	v_add_co_u32_e32 v6, vcc, 0x5000, v8
	s_nop 1
	v_addc_co_u32_e32 v7, vcc, 0, v9, vcc
	global_load_dwordx2 v[6:7], v[6:7], off offset:2848
	s_waitcnt vmcnt(0)
	ds_write_b64 v1, v[6:7] offset:23328
	v_mov_b32_e32 v6, 0xf2
.LBB0_14:
	s_or_b64 exec, exec, s[4:5]
.LBB0_15:
	s_or_b64 exec, exec, s[10:11]
	v_lshlrev_b32_e32 v0, 3, v6
	v_add_u32_e32 v12, 0, v0
	s_waitcnt lgkmcnt(0)
	s_barrier
	v_sub_u32_e32 v13, 0, v0
	ds_read_b32 v0, v12
	ds_read_b32 v1, v13 offset:23328
	s_add_u32 s4, s8, 0x5af0
	s_addc_u32 s5, s9, 0
	v_cmp_ne_u32_e32 vcc, 0, v6
	s_waitcnt lgkmcnt(0)
	v_add_f32_e32 v10, v1, v0
	v_sub_f32_e32 v11, v0, v1
                                        ; implicit-def: $vgpr0_vgpr1
	s_and_saveexec_b64 s[10:11], vcc
	s_xor_b64 s[10:11], exec, s[10:11]
	s_cbranch_execz .LBB0_17
; %bb.16:
	v_mov_b32_e32 v7, 0
	v_lshl_add_u64 v[0:1], v[6:7], 3, s[4:5]
	global_load_dwordx2 v[8:9], v[0:1], off
	ds_read_b32 v17, v13 offset:23332
	ds_read_b32 v18, v12 offset:4
	v_mov_b32_e32 v14, v11
	v_mov_b32_e32 v16, v10
	;; [unrolled: 1-line block ×3, first 2 shown]
	v_mov_b64_e32 v[0:1], v[6:7]
	s_waitcnt lgkmcnt(0)
	v_add_f32_e32 v15, v17, v18
	v_sub_f32_e32 v17, v18, v17
	v_mov_b32_e32 v18, v15
	s_waitcnt vmcnt(0)
	v_pk_mul_f32 v[20:21], v[14:15], v[8:9] op_sel:[0,1]
	v_pk_fma_f32 v[14:15], v[14:15], v[8:9], v[16:17] op_sel:[0,1,0]
	v_mov_b32_e32 v11, v21
	v_mov_b32_e32 v21, v17
	v_pk_fma_f32 v[22:23], v[8:9], v[18:19], v[14:15] neg_lo:[1,0,0] neg_hi:[1,0,0]
	v_pk_fma_f32 v[14:15], v[8:9], v[18:19], v[14:15] op_sel_hi:[0,1,1]
	v_pk_add_f32 v[10:11], v[10:11], v[20:21] neg_lo:[0,1] neg_hi:[0,1]
	v_mov_b32_e32 v23, v15
	v_pk_fma_f32 v[8:9], v[8:9], v[18:19], v[10:11] op_sel_hi:[0,1,1]
	ds_write_b64 v13, v[8:9] offset:23328
	v_mov_b64_e32 v[10:11], v[22:23]
.LBB0_17:
	s_andn2_saveexec_b64 s[10:11], s[10:11]
	s_cbranch_execz .LBB0_19
; %bb.18:
	v_mov_b32_e32 v7, 0
	ds_read_b64 v[0:1], v7 offset:11664
	s_mov_b32 s12, 2.0
	s_mov_b32 s13, -2.0
	s_waitcnt lgkmcnt(0)
	v_pk_mul_f32 v[0:1], v[0:1], s[12:13]
	ds_write_b64 v7, v[0:1] offset:11664
	v_mov_b64_e32 v[0:1], 0
.LBB0_19:
	s_or_b64 exec, exec, s[10:11]
	v_lshl_add_u64 v[14:15], v[0:1], 3, s[4:5]
	global_load_dwordx2 v[16:17], v[14:15], off offset:1944
	v_add_u32_e32 v0, 0x1e6, v6
	v_mov_b32_e32 v1, 0
	v_lshl_add_u64 v[8:9], v[0:1], 3, s[4:5]
	global_load_dwordx2 v[18:19], v[8:9], off
	v_add_u32_e32 v8, 0x2d9, v6
	v_mov_b32_e32 v9, v1
	v_lshl_add_u64 v[20:21], v[8:9], 3, s[4:5]
	global_load_dwordx2 v[20:21], v[20:21], off
	s_movk_i32 s10, 0x1000
	v_add_co_u32_e32 v24, vcc, s10, v14
	ds_write_b64 v12, v[10:11]
	s_nop 0
	v_addc_co_u32_e32 v25, vcc, 0, v15, vcc
	ds_read_b64 v[10:11], v13 offset:21384
	ds_read_b64 v[22:23], v12 offset:1944
	global_load_dwordx2 v[24:25], v[24:25], off offset:3680
	s_movk_i32 s4, 0x2000
	v_add_co_u32_e32 v14, vcc, s4, v14
	s_waitcnt lgkmcnt(0)
	v_pk_add_f32 v[26:27], v[22:23], v[10:11] neg_lo:[0,1] neg_hi:[0,1]
	v_pk_add_f32 v[10:11], v[22:23], v[10:11]
	v_mov_b32_e32 v22, v26
	v_mov_b32_e32 v23, v11
	;; [unrolled: 1-line block ×6, first 2 shown]
	v_addc_co_u32_e32 v15, vcc, 0, v15, vcc
	v_lshl_add_u32 v9, v0, 3, 0
	v_lshl_add_u32 v7, v8, 3, 0
	s_mov_b32 s4, 0x3f5db3d7
	s_mov_b32 s5, 0xbf5db3d7
	s_mov_b32 s12, 0.5
	s_mov_b32 s13, s4
	s_mov_b32 s14, s4
	;; [unrolled: 1-line block ×3, first 2 shown]
	v_mad_u32_u24 v48, v6, 40, v12
	s_movk_i32 s11, 0xab
	s_waitcnt vmcnt(3)
	v_pk_mul_f32 v[32:33], v[22:23], v[16:17] op_sel:[0,1]
	v_pk_fma_f32 v[22:23], v[22:23], v[16:17], v[28:29] op_sel:[0,1,0]
	v_mov_b32_e32 v11, v33
	v_mov_b32_e32 v33, v27
	v_pk_fma_f32 v[28:29], v[16:17], v[30:31], v[22:23] neg_lo:[1,0,0] neg_hi:[1,0,0]
	v_pk_fma_f32 v[22:23], v[16:17], v[30:31], v[22:23] op_sel_hi:[0,1,1]
	v_pk_add_f32 v[10:11], v[10:11], v[32:33] neg_lo:[0,1] neg_hi:[0,1]
	v_mov_b32_e32 v29, v23
	v_pk_fma_f32 v[10:11], v[16:17], v[30:31], v[10:11] op_sel_hi:[0,1,1]
	ds_write_b64 v12, v[28:29] offset:1944
	ds_write_b64 v13, v[10:11] offset:21384
	ds_read_b64 v[10:11], v13 offset:19440
	ds_read_b64 v[16:17], v9
	global_load_dwordx2 v[22:23], v[14:15], off offset:1528
	s_waitcnt lgkmcnt(0)
	v_pk_add_f32 v[14:15], v[16:17], v[10:11] neg_lo:[0,1] neg_hi:[0,1]
	v_pk_add_f32 v[10:11], v[16:17], v[10:11]
	v_mov_b32_e32 v16, v14
	v_mov_b32_e32 v17, v11
	;; [unrolled: 1-line block ×4, first 2 shown]
	s_waitcnt vmcnt(3)
	v_pk_mul_f32 v[30:31], v[16:17], v[18:19] op_sel:[0,1]
	v_mov_b32_e32 v28, v11
	v_mov_b32_e32 v29, v14
	v_pk_fma_f32 v[16:17], v[16:17], v[18:19], v[26:27] op_sel:[0,1,0]
	v_mov_b32_e32 v11, v31
	v_mov_b32_e32 v31, v15
	v_pk_fma_f32 v[26:27], v[18:19], v[28:29], v[16:17] neg_lo:[1,0,0] neg_hi:[1,0,0]
	v_pk_fma_f32 v[16:17], v[18:19], v[28:29], v[16:17] op_sel_hi:[0,1,1]
	v_pk_add_f32 v[10:11], v[10:11], v[30:31] neg_lo:[0,1] neg_hi:[0,1]
	v_mov_b32_e32 v27, v17
	v_pk_fma_f32 v[10:11], v[18:19], v[28:29], v[10:11] op_sel_hi:[0,1,1]
	ds_write_b64 v9, v[26:27]
	ds_write_b64 v13, v[10:11] offset:19440
	ds_read_b64 v[10:11], v13 offset:17496
	ds_read_b64 v[14:15], v7
	s_waitcnt lgkmcnt(0)
	v_pk_add_f32 v[16:17], v[14:15], v[10:11] neg_lo:[0,1] neg_hi:[0,1]
	v_pk_add_f32 v[10:11], v[14:15], v[10:11]
	v_mov_b32_e32 v14, v16
	v_mov_b32_e32 v15, v11
	;; [unrolled: 1-line block ×4, first 2 shown]
	s_waitcnt vmcnt(2)
	v_pk_mul_f32 v[28:29], v[14:15], v[20:21] op_sel:[0,1]
	v_mov_b32_e32 v26, v11
	v_mov_b32_e32 v27, v16
	v_pk_fma_f32 v[14:15], v[14:15], v[20:21], v[18:19] op_sel:[0,1,0]
	v_mov_b32_e32 v11, v29
	v_mov_b32_e32 v29, v17
	v_pk_fma_f32 v[18:19], v[20:21], v[26:27], v[14:15] neg_lo:[1,0,0] neg_hi:[1,0,0]
	v_pk_fma_f32 v[14:15], v[20:21], v[26:27], v[14:15] op_sel_hi:[0,1,1]
	v_pk_add_f32 v[10:11], v[10:11], v[28:29] neg_lo:[0,1] neg_hi:[0,1]
	v_mov_b32_e32 v19, v15
	v_pk_fma_f32 v[10:11], v[20:21], v[26:27], v[10:11] op_sel_hi:[0,1,1]
	ds_write_b64 v7, v[18:19]
	ds_write_b64 v13, v[10:11] offset:17496
	ds_read_b64 v[10:11], v13 offset:15552
	ds_read_b64 v[14:15], v12 offset:7776
	s_waitcnt lgkmcnt(0)
	v_pk_add_f32 v[16:17], v[14:15], v[10:11] neg_lo:[0,1] neg_hi:[0,1]
	v_pk_add_f32 v[10:11], v[14:15], v[10:11]
	v_mov_b32_e32 v14, v16
	v_mov_b32_e32 v15, v11
	;; [unrolled: 1-line block ×4, first 2 shown]
	s_waitcnt vmcnt(1)
	v_pk_mul_f32 v[26:27], v[14:15], v[24:25] op_sel:[0,1]
	v_mov_b32_e32 v20, v11
	v_mov_b32_e32 v21, v16
	v_pk_fma_f32 v[14:15], v[14:15], v[24:25], v[18:19] op_sel:[0,1,0]
	v_mov_b32_e32 v11, v27
	v_mov_b32_e32 v27, v17
	v_pk_fma_f32 v[18:19], v[24:25], v[20:21], v[14:15] neg_lo:[1,0,0] neg_hi:[1,0,0]
	v_pk_fma_f32 v[14:15], v[24:25], v[20:21], v[14:15] op_sel_hi:[0,1,1]
	v_pk_add_f32 v[10:11], v[10:11], v[26:27] neg_lo:[0,1] neg_hi:[0,1]
	v_mov_b32_e32 v19, v15
	v_pk_fma_f32 v[10:11], v[24:25], v[20:21], v[10:11] op_sel_hi:[0,1,1]
	ds_write_b64 v12, v[18:19] offset:7776
	ds_write_b64 v13, v[10:11] offset:15552
	ds_read_b64 v[10:11], v13 offset:13608
	ds_read_b64 v[16:17], v12 offset:9720
	v_add_u32_e32 v15, 0x2d80, v12
	v_add_u32_e32 v14, 0xf3, v6
	s_waitcnt lgkmcnt(0)
	v_pk_add_f32 v[18:19], v[16:17], v[10:11] neg_lo:[0,1] neg_hi:[0,1]
	v_pk_add_f32 v[10:11], v[16:17], v[10:11]
	v_mov_b32_e32 v16, v18
	v_mov_b32_e32 v17, v11
	;; [unrolled: 1-line block ×4, first 2 shown]
	s_waitcnt vmcnt(0)
	v_pk_mul_f32 v[26:27], v[16:17], v[22:23] op_sel:[0,1]
	v_mov_b32_e32 v24, v11
	v_mov_b32_e32 v25, v18
	v_pk_fma_f32 v[16:17], v[16:17], v[22:23], v[20:21] op_sel:[0,1,0]
	v_mov_b32_e32 v11, v27
	v_mov_b32_e32 v27, v19
	v_pk_fma_f32 v[20:21], v[22:23], v[24:25], v[16:17] neg_lo:[1,0,0] neg_hi:[1,0,0]
	v_pk_fma_f32 v[16:17], v[22:23], v[24:25], v[16:17] op_sel_hi:[0,1,1]
	v_pk_add_f32 v[10:11], v[10:11], v[26:27] neg_lo:[0,1] neg_hi:[0,1]
	v_mov_b32_e32 v21, v17
	v_pk_fma_f32 v[10:11], v[22:23], v[24:25], v[10:11] op_sel_hi:[0,1,1]
	ds_write_b64 v12, v[20:21] offset:9720
	ds_write_b64 v13, v[10:11] offset:13608
	v_add_u32_e32 v10, 0xf00, v12
	s_waitcnt lgkmcnt(0)
	s_barrier
	s_barrier
	ds_read2_b64 v[20:23], v10 offset0:6 offset1:249
	v_add_u32_e32 v10, 0x1e00, v12
	v_add_u32_e32 v11, 0x3c80, v12
	ds_read2_b64 v[24:27], v10 offset0:12 offset1:255
	ds_read2_b64 v[32:35], v11 offset0:8 offset1:251
	v_add_u32_e32 v13, 0x4bc0, v12
	ds_read2_b64 v[16:19], v12 offset1:243
	ds_read2_b64 v[28:31], v15 offset0:2 offset1:245
	ds_read2_b64 v[36:39], v13 offset0:6 offset1:249
	s_waitcnt lgkmcnt(3)
	v_pk_add_f32 v[46:47], v[24:25], v[32:33]
	s_waitcnt lgkmcnt(0)
	v_pk_add_f32 v[40:41], v[16:17], v[24:25]
	v_pk_fma_f32 v[16:17], v[46:47], 0.5, v[16:17] op_sel_hi:[1,0,1] neg_lo:[1,0,0] neg_hi:[1,0,0]
	v_pk_add_f32 v[24:25], v[24:25], v[32:33] neg_lo:[0,1] neg_hi:[0,1]
	v_pk_add_f32 v[46:47], v[28:29], v[36:37]
	v_pk_add_f32 v[42:43], v[20:21], v[28:29]
	v_pk_mul_f32 v[24:25], v[24:25], s[4:5] op_sel_hi:[1,0]
	v_pk_fma_f32 v[20:21], v[46:47], 0.5, v[20:21] op_sel_hi:[1,0,1] neg_lo:[1,0,0] neg_hi:[1,0,0]
	v_pk_add_f32 v[28:29], v[28:29], v[36:37] neg_lo:[0,1] neg_hi:[0,1]
	v_pk_add_f32 v[40:41], v[40:41], v[32:33]
	v_pk_add_f32 v[42:43], v[42:43], v[36:37]
	v_pk_add_f32 v[32:33], v[16:17], v[24:25] op_sel:[0,1] op_sel_hi:[1,0]
	v_pk_add_f32 v[16:17], v[16:17], v[24:25] op_sel:[0,1] op_sel_hi:[1,0] neg_lo:[0,1] neg_hi:[0,1]
	v_pk_fma_f32 v[36:37], v[28:29], s[4:5], v[20:21] op_sel:[0,0,1] op_sel_hi:[1,0,0]
	v_pk_fma_f32 v[20:21], v[28:29], s[4:5], v[20:21] op_sel:[0,0,1] op_sel_hi:[1,0,0] neg_lo:[1,0,0] neg_hi:[1,0,0]
	v_mov_b32_e32 v24, v32
	v_mov_b32_e32 v25, v17
	;; [unrolled: 1-line block ×5, first 2 shown]
	v_pk_mul_f32 v[32:33], v[36:37], s[12:13] op_sel:[1,0]
	v_pk_mul_f32 v[46:47], v[28:29], 0.5 op_sel_hi:[1,0]
	v_pk_fma_f32 v[36:37], v[20:21], s[14:15], v[32:33]
	v_pk_fma_f32 v[20:21], v[20:21], s[14:15], v[32:33] op_sel_hi:[0,1,1] neg_lo:[0,0,1] neg_hi:[0,0,1]
	v_pk_fma_f32 v[28:29], v[28:29], s[4:5], v[46:47] op_sel:[0,0,1] op_sel_hi:[1,1,0] neg_lo:[0,0,1] neg_hi:[0,0,1]
	v_mov_b32_e32 v37, v21
	v_pk_add_f32 v[44:45], v[40:41], v[42:43]
	v_pk_add_f32 v[20:21], v[24:25], v[36:37]
	;; [unrolled: 1-line block ×3, first 2 shown]
	v_pk_add_f32 v[16:17], v[16:17], v[28:29] neg_lo:[0,1] neg_hi:[0,1]
	v_pk_add_f32 v[40:41], v[40:41], v[42:43] neg_lo:[0,1] neg_hi:[0,1]
	;; [unrolled: 1-line block ×3, first 2 shown]
	s_barrier
	ds_write2_b64 v48, v[44:45], v[20:21] offset1:1
	ds_write2_b64 v48, v[32:33], v[40:41] offset0:2 offset1:3
	ds_write2_b64 v48, v[24:25], v[16:17] offset0:4 offset1:5
	v_pk_add_f32 v[16:17], v[26:27], v[34:35]
	v_pk_add_f32 v[28:29], v[18:19], v[26:27]
	v_pk_fma_f32 v[16:17], v[16:17], 0.5, v[18:19] op_sel_hi:[1,0,1] neg_lo:[1,0,0] neg_hi:[1,0,0]
	v_pk_add_f32 v[18:19], v[26:27], v[34:35] neg_lo:[0,1] neg_hi:[0,1]
	v_pk_add_f32 v[24:25], v[30:31], v[38:39]
	v_pk_add_f32 v[36:37], v[22:23], v[30:31]
	v_pk_mul_f32 v[18:19], v[18:19], s[4:5] op_sel_hi:[1,0]
	v_pk_fma_f32 v[22:23], v[24:25], 0.5, v[22:23] op_sel_hi:[1,0,1] neg_lo:[1,0,0] neg_hi:[1,0,0]
	v_pk_add_f32 v[24:25], v[30:31], v[38:39] neg_lo:[0,1] neg_hi:[0,1]
	v_pk_add_f32 v[20:21], v[16:17], v[18:19] op_sel:[0,1] op_sel_hi:[1,0]
	v_pk_add_f32 v[16:17], v[16:17], v[18:19] op_sel:[0,1] op_sel_hi:[1,0] neg_lo:[0,1] neg_hi:[0,1]
	v_pk_fma_f32 v[26:27], v[24:25], s[4:5], v[22:23] op_sel:[0,0,1] op_sel_hi:[1,0,0]
	v_mov_b32_e32 v18, v20
	v_mov_b32_e32 v19, v17
	v_pk_fma_f32 v[22:23], v[24:25], s[4:5], v[22:23] op_sel:[0,0,1] op_sel_hi:[1,0,0] neg_lo:[1,0,0] neg_hi:[1,0,0]
	v_mov_b32_e32 v17, v21
	v_pk_mul_f32 v[20:21], v[26:27], s[12:13] op_sel:[1,0]
	v_mov_b32_e32 v24, v26
	v_mov_b32_e32 v25, v23
	v_pk_fma_f32 v[26:27], v[22:23], s[14:15], v[20:21]
	v_pk_fma_f32 v[20:21], v[22:23], s[14:15], v[20:21] op_sel_hi:[0,1,1] neg_lo:[0,0,1] neg_hi:[0,0,1]
	v_pk_add_f32 v[28:29], v[28:29], v[34:35]
	v_pk_add_f32 v[36:37], v[36:37], v[38:39]
	v_pk_mul_f32 v[30:31], v[24:25], 0.5 op_sel_hi:[1,0]
	v_mov_b32_e32 v27, v21
	v_add_u32_e32 v46, 0x2d90, v48
	v_pk_add_f32 v[42:43], v[28:29], v[36:37]
	v_pk_fma_f32 v[24:25], v[24:25], s[4:5], v[30:31] op_sel:[0,0,1] op_sel_hi:[1,1,0] neg_lo:[0,0,1] neg_hi:[0,0,1]
	v_pk_add_f32 v[20:21], v[18:19], v[26:27]
	v_add_u32_e32 v32, 0x2da0, v48
	v_pk_add_f32 v[22:23], v[16:17], v[24:25]
	ds_write2_b64 v46, v[42:43], v[20:21] offset1:1
	v_pk_add_f32 v[20:21], v[28:29], v[36:37] neg_lo:[0,1] neg_hi:[0,1]
	ds_write2_b64 v32, v[22:23], v[20:21] offset1:1
	v_add_u32_e32 v20, 0x2db0, v48
	v_pk_add_f32 v[18:19], v[18:19], v[26:27] neg_lo:[0,1] neg_hi:[0,1]
	v_pk_add_f32 v[16:17], v[16:17], v[24:25] neg_lo:[0,1] neg_hi:[0,1]
	s_mov_b32 s12, 0xaaab
	ds_write2_b64 v20, v[18:19], v[16:17] offset1:1
	v_mul_u32_u24_sdwa v16, v14, s12 dst_sel:DWORD dst_unused:UNUSED_PAD src0_sel:WORD_0 src1_sel:DWORD
	v_lshrrev_b32_e32 v17, 18, v16
	v_mul_lo_u16_e32 v16, 6, v17
	v_sub_u16_e32 v54, v14, v16
	v_mul_u32_u24_e32 v16, 5, v54
	v_lshlrev_b32_e32 v16, 3, v16
	s_waitcnt lgkmcnt(0)
	s_barrier
	global_load_dwordx4 v[18:21], v16, s[8:9]
	v_mul_lo_u16_sdwa v22, v6, s11 dst_sel:DWORD dst_unused:UNUSED_PAD src0_sel:BYTE_0 src1_sel:DWORD
	v_lshrrev_b16_e32 v55, 10, v22
	v_mul_lo_u16_e32 v22, 6, v55
	v_sub_u16_e32 v56, v6, v22
	v_mov_b32_e32 v22, 5
	v_mul_u32_u24_sdwa v22, v56, v22 dst_sel:DWORD dst_unused:UNUSED_PAD src0_sel:BYTE_0 src1_sel:DWORD
	v_lshlrev_b32_e32 v34, 3, v22
	global_load_dwordx4 v[22:25], v34, s[8:9] offset:16
	global_load_dwordx4 v[26:29], v16, s[8:9] offset:16
	global_load_dwordx2 v[50:51], v16, s[8:9] offset:32
	global_load_dwordx4 v[30:33], v34, s[8:9]
	global_load_dwordx2 v[52:53], v34, s[8:9] offset:32
	v_add_u32_e32 v16, 0x1680, v12
	ds_read2_b64 v[34:37], v16 offset0:9 offset1:252
	v_add_u32_e32 v16, 0x25c0, v12
	ds_read2_b64 v[38:41], v16 offset0:7 offset1:250
	;; [unrolled: 2-line block ×4, first 2 shown]
	v_mov_b32_e32 v16, 3
	v_mul_u32_u24_e32 v55, 0x120, v55
	v_lshlrev_b32_sdwa v56, v16, v56 dst_sel:DWORD dst_unused:UNUSED_PAD src0_sel:DWORD src1_sel:BYTE_0
	v_mul_u32_u24_e32 v17, 0x120, v17
	v_lshlrev_b32_e32 v54, 3, v54
	v_add3_u32 v58, 0, v55, v56
	v_add3_u32 v17, 0, v17, v54
	s_mov_b32 s11, 0xe38f
	s_movk_i32 s12, 0x360
	s_waitcnt vmcnt(5) lgkmcnt(3)
	v_pk_mul_f32 v[54:55], v[34:35], v[18:19] op_sel:[0,1]
	s_nop 0
	v_pk_fma_f32 v[56:57], v[34:35], v[18:19], v[54:55] op_sel:[0,0,1] op_sel_hi:[1,1,0] neg_lo:[0,0,1] neg_hi:[0,0,1]
	v_pk_fma_f32 v[18:19], v[34:35], v[18:19], v[54:55] op_sel:[0,0,1] op_sel_hi:[1,0,0]
	s_nop 0
	v_mov_b32_e32 v18, v21
	v_mov_b32_e32 v57, v19
	s_waitcnt lgkmcnt(2)
	v_pk_mul_f32 v[18:19], v[38:39], v[18:19] op_sel_hi:[1,0]
	s_nop 0
	v_pk_fma_f32 v[34:35], v[38:39], v[20:21], v[18:19] op_sel:[0,0,1] op_sel_hi:[1,1,0] neg_lo:[0,0,1] neg_hi:[0,0,1]
	v_pk_fma_f32 v[18:19], v[38:39], v[20:21], v[18:19] op_sel:[0,0,1] op_sel_hi:[1,0,0]
	s_waitcnt vmcnt(4)
	v_pk_mul_f32 v[20:21], v[22:23], v[40:41] op_sel:[0,1]
	s_waitcnt vmcnt(3)
	v_mov_b32_e32 v18, v29
	v_pk_fma_f32 v[38:39], v[22:23], v[40:41], v[20:21] op_sel:[0,0,1] op_sel_hi:[1,1,0] neg_lo:[0,0,1] neg_hi:[0,0,1]
	v_pk_fma_f32 v[22:23], v[22:23], v[40:41], v[20:21] op_sel:[0,0,1] op_sel_hi:[1,0,0]
	s_waitcnt lgkmcnt(1)
	v_pk_mul_f32 v[20:21], v[24:25], v[44:45] op_sel:[0,1]
	v_mov_b32_e32 v35, v19
	v_pk_fma_f32 v[40:41], v[24:25], v[44:45], v[20:21] op_sel:[0,0,1] op_sel_hi:[1,1,0] neg_lo:[0,0,1] neg_hi:[0,0,1]
	v_pk_fma_f32 v[24:25], v[24:25], v[44:45], v[20:21] op_sel:[0,0,1] op_sel_hi:[1,0,0]
	v_pk_mul_f32 v[20:21], v[42:43], v[26:27] op_sel:[0,1]
	s_waitcnt lgkmcnt(0)
	v_pk_mul_f32 v[18:19], v[46:47], v[18:19] op_sel_hi:[1,0]
	v_pk_fma_f32 v[44:45], v[42:43], v[26:27], v[20:21] op_sel:[0,0,1] op_sel_hi:[1,1,0] neg_lo:[0,0,1] neg_hi:[0,0,1]
	v_pk_fma_f32 v[20:21], v[42:43], v[26:27], v[20:21] op_sel:[0,0,1] op_sel_hi:[1,0,0]
	ds_read_b64 v[26:27], v9
	ds_read_b64 v[42:43], v12 offset:21384
	v_pk_fma_f32 v[54:55], v[46:47], v[28:29], v[18:19] op_sel:[0,0,1] op_sel_hi:[1,1,0] neg_lo:[0,0,1] neg_hi:[0,0,1]
	v_pk_fma_f32 v[28:29], v[46:47], v[28:29], v[18:19] op_sel:[0,0,1] op_sel_hi:[1,0,0]
	v_mov_b32_e32 v45, v21
	v_mov_b32_e32 v55, v29
	s_waitcnt vmcnt(2) lgkmcnt(0)
	v_pk_mul_f32 v[18:19], v[42:43], v[50:51] op_sel:[0,1]
	s_waitcnt vmcnt(1)
	v_pk_mul_f32 v[28:29], v[32:33], v[36:37] op_sel:[0,1]
	v_pk_fma_f32 v[46:47], v[42:43], v[50:51], v[18:19] op_sel:[0,0,1] op_sel_hi:[1,1,0] neg_lo:[0,0,1] neg_hi:[0,0,1]
	v_pk_fma_f32 v[42:43], v[42:43], v[50:51], v[18:19] op_sel:[0,0,1] op_sel_hi:[1,0,0]
	ds_read2_b64 v[18:21], v12 offset1:243
	v_mov_b32_e32 v47, v43
	v_pk_fma_f32 v[42:43], v[32:33], v[36:37], v[28:29] op_sel:[0,0,1] op_sel_hi:[1,1,0] neg_lo:[0,0,1] neg_hi:[0,0,1]
	v_pk_fma_f32 v[28:29], v[32:33], v[36:37], v[28:29] op_sel:[0,0,1] op_sel_hi:[1,0,0]
	v_pk_mul_f32 v[32:33], v[30:31], v[26:27] op_sel:[0,1]
	v_mov_b32_e32 v39, v23
	s_waitcnt vmcnt(0)
	v_pk_mul_f32 v[22:23], v[52:53], v[48:49] op_sel:[0,1]
	v_pk_fma_f32 v[36:37], v[30:31], v[26:27], v[32:33] op_sel:[0,0,1] op_sel_hi:[1,1,0] neg_lo:[0,0,1] neg_hi:[0,0,1]
	v_pk_fma_f32 v[26:27], v[30:31], v[26:27], v[32:33] op_sel:[0,0,1] op_sel_hi:[1,0,0]
	v_mov_b32_e32 v43, v29
	v_mov_b32_e32 v41, v25
	v_pk_fma_f32 v[24:25], v[52:53], v[48:49], v[22:23] op_sel:[0,0,1] op_sel_hi:[1,1,0] neg_lo:[0,0,1] neg_hi:[0,0,1]
	v_pk_fma_f32 v[22:23], v[52:53], v[48:49], v[22:23] op_sel:[0,0,1] op_sel_hi:[1,0,0]
	v_mov_b32_e32 v37, v27
	v_mov_b32_e32 v25, v23
	s_waitcnt lgkmcnt(0)
	v_pk_add_f32 v[22:23], v[18:19], v[42:43]
	v_pk_add_f32 v[48:49], v[42:43], v[40:41]
	;; [unrolled: 1-line block ×4, first 2 shown]
	v_pk_fma_f32 v[18:19], v[48:49], 0.5, v[18:19] op_sel_hi:[1,0,1] neg_lo:[1,0,0] neg_hi:[1,0,0]
	v_pk_add_f32 v[40:41], v[42:43], v[40:41] neg_lo:[0,1] neg_hi:[0,1]
	v_pk_add_f32 v[48:49], v[38:39], v[24:25]
	v_pk_add_f32 v[26:27], v[26:27], v[24:25]
	v_pk_mul_f32 v[40:41], v[40:41], s[4:5] op_sel_hi:[1,0]
	v_pk_fma_f32 v[36:37], v[48:49], 0.5, v[36:37] op_sel_hi:[1,0,1] neg_lo:[1,0,0] neg_hi:[1,0,0]
	v_pk_add_f32 v[24:25], v[38:39], v[24:25] neg_lo:[0,1] neg_hi:[0,1]
	v_pk_add_f32 v[42:43], v[40:41], v[18:19] op_sel:[1,0] op_sel_hi:[0,1]
	v_pk_fma_f32 v[38:39], v[24:25], s[4:5], v[36:37] op_sel:[0,0,1] op_sel_hi:[1,0,0]
	v_pk_fma_f32 v[24:25], v[24:25], s[4:5], v[36:37] op_sel:[0,0,1] op_sel_hi:[1,0,0] neg_lo:[1,0,0] neg_hi:[1,0,0]
	v_pk_add_f32 v[18:19], v[18:19], v[40:41] op_sel:[0,1] op_sel_hi:[1,0] neg_lo:[0,1] neg_hi:[0,1]
	v_mov_b32_e32 v41, v43
	v_mov_b32_e32 v36, v38
	;; [unrolled: 1-line block ×3, first 2 shown]
	v_mul_f32_e32 v43, 0xbf5db3d7, v39
	v_mov_b32_e32 v40, v18
	v_mul_f32_e32 v18, 0x3f5db3d7, v24
	v_fmac_f32_e32 v43, 0.5, v24
	v_pk_mul_f32 v[24:25], v[36:37], 0.5 op_sel_hi:[1,0]
	v_pk_add_f32 v[28:29], v[22:23], v[26:27]
	v_pk_fma_f32 v[24:25], v[36:37], s[4:5], v[24:25] op_sel:[0,0,1] op_sel_hi:[1,1,0] neg_lo:[0,0,1] neg_hi:[0,0,1]
	v_fmac_f32_e32 v18, 0.5, v39
	v_pk_add_f32 v[36:37], v[40:41], v[24:25]
	v_pk_add_f32 v[22:23], v[22:23], v[26:27] neg_lo:[0,1] neg_hi:[0,1]
	s_barrier
	v_add_f32_e32 v38, v42, v18
	v_add_f32_e32 v39, v19, v43
	v_sub_f32_e32 v18, v42, v18
	v_sub_f32_e32 v19, v19, v43
	ds_write2_b64 v58, v[36:37], v[22:23] offset0:12 offset1:18
	v_pk_add_f32 v[22:23], v[40:41], v[24:25] neg_lo:[0,1] neg_hi:[0,1]
	ds_write2_b64 v58, v[18:19], v[22:23] offset0:24 offset1:30
	v_pk_add_f32 v[18:19], v[34:35], v[54:55]
	v_pk_add_f32 v[30:31], v[20:21], v[34:35]
	v_pk_fma_f32 v[18:19], v[18:19], 0.5, v[20:21] op_sel_hi:[1,0,1] neg_lo:[1,0,0] neg_hi:[1,0,0]
	v_pk_add_f32 v[20:21], v[34:35], v[54:55] neg_lo:[0,1] neg_hi:[0,1]
	v_pk_add_f32 v[24:25], v[44:45], v[46:47]
	v_pk_mul_f32 v[20:21], v[20:21], s[4:5] op_sel_hi:[1,0]
	v_pk_fma_f32 v[24:25], v[24:25], 0.5, v[56:57] op_sel_hi:[1,0,1] neg_lo:[1,0,0] neg_hi:[1,0,0]
	v_pk_add_f32 v[26:27], v[44:45], v[46:47] neg_lo:[0,1] neg_hi:[0,1]
	ds_write2_b64 v58, v[28:29], v[38:39] offset1:6
	v_pk_add_f32 v[22:23], v[20:21], v[18:19] op_sel:[1,0] op_sel_hi:[0,1]
	v_pk_fma_f32 v[28:29], v[26:27], s[4:5], v[24:25] op_sel:[0,0,1] op_sel_hi:[1,0,0]
	v_pk_fma_f32 v[24:25], v[26:27], s[4:5], v[24:25] op_sel:[0,0,1] op_sel_hi:[1,0,0] neg_lo:[1,0,0] neg_hi:[1,0,0]
	v_pk_add_f32 v[18:19], v[18:19], v[20:21] op_sel:[0,1] op_sel_hi:[1,0] neg_lo:[0,1] neg_hi:[0,1]
	v_mov_b32_e32 v21, v23
	v_mov_b32_e32 v26, v28
	;; [unrolled: 1-line block ×3, first 2 shown]
	v_mul_f32_e32 v23, 0xbf5db3d7, v29
	v_pk_add_f32 v[32:33], v[56:57], v[44:45]
	v_mov_b32_e32 v20, v18
	v_mul_f32_e32 v18, 0x3f5db3d7, v24
	v_fmac_f32_e32 v23, 0.5, v24
	v_pk_mul_f32 v[24:25], v[26:27], 0.5 op_sel_hi:[1,0]
	v_pk_add_f32 v[30:31], v[30:31], v[54:55]
	v_pk_add_f32 v[32:33], v[32:33], v[46:47]
	v_fmac_f32_e32 v18, 0.5, v29
	v_pk_fma_f32 v[24:25], v[26:27], s[4:5], v[24:25] op_sel:[0,0,1] op_sel_hi:[1,1,0] neg_lo:[0,0,1] neg_hi:[0,0,1]
	v_pk_add_f32 v[50:51], v[30:31], v[32:33]
	v_add_f32_e32 v28, v22, v18
	v_add_f32_e32 v29, v19, v23
	v_pk_add_f32 v[26:27], v[20:21], v[24:25]
	v_sub_f32_e32 v18, v22, v18
	v_sub_f32_e32 v19, v19, v23
	v_pk_add_f32 v[22:23], v[30:31], v[32:33] neg_lo:[0,1] neg_hi:[0,1]
	v_pk_add_f32 v[20:21], v[20:21], v[24:25] neg_lo:[0,1] neg_hi:[0,1]
	ds_write2_b64 v17, v[50:51], v[28:29] offset1:6
	ds_write2_b64 v17, v[26:27], v[22:23] offset0:12 offset1:18
	ds_write2_b64 v17, v[18:19], v[20:21] offset0:24 offset1:30
	v_mul_u32_u24_sdwa v17, v8, s11 dst_sel:DWORD dst_unused:UNUSED_PAD src0_sel:WORD_0 src1_sel:DWORD
	v_lshrrev_b32_e32 v17, 21, v17
	v_mul_lo_u16_e32 v18, 36, v17
	v_sub_u16_e32 v46, v8, v18
	v_lshlrev_b32_e32 v18, 4, v46
	s_waitcnt lgkmcnt(0)
	s_barrier
	global_load_dwordx4 v[18:21], v18, s[8:9] offset:240
	v_mul_u32_u24_sdwa v22, v0, s11 dst_sel:DWORD dst_unused:UNUSED_PAD src0_sel:WORD_0 src1_sel:DWORD
	v_lshrrev_b32_e32 v47, 21, v22
	v_mul_lo_u16_e32 v22, 36, v47
	v_sub_u16_e32 v48, v0, v22
	v_lshlrev_b32_e32 v22, 4, v48
	global_load_dwordx4 v[22:25], v22, s[8:9] offset:240
	v_mul_u32_u24_sdwa v26, v14, s11 dst_sel:DWORD dst_unused:UNUSED_PAD src0_sel:WORD_0 src1_sel:DWORD
	v_lshrrev_b32_e32 v49, 21, v26
	v_mov_b32_e32 v30, 57
	v_mul_lo_u16_e32 v26, 36, v49
	v_mul_lo_u16_sdwa v30, v6, v30 dst_sel:DWORD dst_unused:UNUSED_PAD src0_sel:BYTE_0 src1_sel:DWORD
	v_sub_u16_e32 v50, v14, v26
	v_lshrrev_b16_e32 v51, 11, v30
	v_lshlrev_b32_e32 v26, 4, v50
	v_mul_lo_u16_e32 v30, 36, v51
	global_load_dwordx4 v[26:29], v26, s[8:9] offset:240
	v_sub_u16_e32 v52, v6, v30
	v_mov_b32_e32 v56, 4
	v_lshlrev_b32_sdwa v30, v56, v52 dst_sel:DWORD dst_unused:UNUSED_PAD src0_sel:DWORD src1_sel:BYTE_0
	global_load_dwordx4 v[30:33], v30, s[8:9] offset:240
	s_mov_b32 s11, 0x5040100
	ds_read2_b64 v[34:37], v10 offset0:12 offset1:255
	ds_read2_b64 v[38:41], v11 offset0:8 offset1:251
	;; [unrolled: 1-line block ×3, first 2 shown]
	v_perm_b32 v17, v17, v47, s11
	v_pk_mul_lo_u16 v17, v17, s12 op_sel_hi:[1,0]
	v_mul_u32_u24_e32 v49, 0x360, v49
	v_lshlrev_b32_e32 v50, 3, v50
	v_and_b32_e32 v47, 0xffe0, v17
	v_lshlrev_b32_e32 v48, 3, v48
	v_lshrrev_b32_e32 v17, 16, v17
	v_lshlrev_b32_e32 v46, 3, v46
	v_add3_u32 v58, 0, v49, v50
	v_add3_u32 v59, 0, v47, v48
	;; [unrolled: 1-line block ×3, first 2 shown]
	ds_read2_b64 v[46:49], v13 offset0:6 offset1:249
	v_mul_u32_u24_e32 v51, 0x360, v51
	v_lshlrev_b32_sdwa v52, v16, v52 dst_sel:DWORD dst_unused:UNUSED_PAD src0_sel:DWORD src1_sel:BYTE_0
	v_add3_u32 v57, 0, v51, v52
	s_movk_i32 s12, 0xa20
	s_waitcnt vmcnt(3) lgkmcnt(1)
	v_pk_mul_f32 v[50:51], v[44:45], v[18:19] op_sel:[0,1]
	s_nop 0
	v_pk_fma_f32 v[52:53], v[44:45], v[18:19], v[50:51] op_sel:[0,0,1] op_sel_hi:[1,1,0] neg_lo:[0,0,1] neg_hi:[0,0,1]
	v_pk_fma_f32 v[18:19], v[44:45], v[18:19], v[50:51] op_sel:[0,0,1] op_sel_hi:[1,0,0]
	s_nop 0
	v_mov_b32_e32 v18, v21
	v_mov_b32_e32 v53, v19
	s_waitcnt lgkmcnt(0)
	v_pk_mul_f32 v[18:19], v[48:49], v[18:19] op_sel_hi:[1,0]
	s_nop 0
	v_pk_fma_f32 v[44:45], v[48:49], v[20:21], v[18:19] op_sel:[0,0,1] op_sel_hi:[1,1,0] neg_lo:[0,0,1] neg_hi:[0,0,1]
	v_pk_fma_f32 v[18:19], v[48:49], v[20:21], v[18:19] op_sel:[0,0,1] op_sel_hi:[1,0,0]
	ds_read_b64 v[48:49], v7
	ds_read_b64 v[50:51], v9
	v_mov_b32_e32 v45, v19
	s_waitcnt vmcnt(2)
	v_pk_mul_f32 v[18:19], v[22:23], v[42:43] op_sel:[0,1]
	s_waitcnt lgkmcnt(1)
	v_pk_add_f32 v[20:21], v[48:49], v[52:53]
	v_pk_fma_f32 v[54:55], v[22:23], v[42:43], v[18:19] op_sel:[0,0,1] op_sel_hi:[1,1,0] neg_lo:[0,0,1] neg_hi:[0,0,1]
	v_pk_fma_f32 v[18:19], v[22:23], v[42:43], v[18:19] op_sel:[0,0,1] op_sel_hi:[1,0,0]
	v_pk_add_f32 v[22:23], v[20:21], v[44:45]
	v_mov_b32_e32 v18, v25
	v_mov_b32_e32 v55, v19
	v_pk_mul_f32 v[18:19], v[46:47], v[18:19] op_sel_hi:[1,0]
	s_nop 0
	v_pk_fma_f32 v[42:43], v[46:47], v[24:25], v[18:19] op_sel:[0,0,1] op_sel_hi:[1,1,0] neg_lo:[0,0,1] neg_hi:[0,0,1]
	v_pk_fma_f32 v[18:19], v[46:47], v[24:25], v[18:19] op_sel:[0,0,1] op_sel_hi:[1,0,0]
	s_nop 0
	v_mov_b32_e32 v43, v19
	s_waitcnt lgkmcnt(0)
	v_pk_add_f32 v[18:19], v[50:51], v[54:55]
	s_nop 0
	v_pk_add_f32 v[24:25], v[18:19], v[42:43]
	s_waitcnt vmcnt(1)
	v_pk_mul_f32 v[18:19], v[26:27], v[36:37] op_sel:[0,1]
	s_nop 0
	v_pk_fma_f32 v[46:47], v[26:27], v[36:37], v[18:19] op_sel:[0,0,1] op_sel_hi:[1,1,0] neg_lo:[0,0,1] neg_hi:[0,0,1]
	v_pk_fma_f32 v[26:27], v[26:27], v[36:37], v[18:19] op_sel:[0,0,1] op_sel_hi:[1,0,0]
	v_pk_mul_f32 v[18:19], v[28:29], v[40:41] op_sel:[0,1]
	v_mov_b32_e32 v47, v27
	v_pk_fma_f32 v[36:37], v[28:29], v[40:41], v[18:19] op_sel:[0,0,1] op_sel_hi:[1,1,0] neg_lo:[0,0,1] neg_hi:[0,0,1]
	v_pk_fma_f32 v[28:29], v[28:29], v[40:41], v[18:19] op_sel:[0,0,1] op_sel_hi:[1,0,0]
	ds_read2_b64 v[18:21], v12 offset1:243
	s_waitcnt vmcnt(0)
	v_pk_mul_f32 v[26:27], v[30:31], v[34:35] op_sel:[0,1]
	v_mov_b32_e32 v37, v29
	v_pk_fma_f32 v[28:29], v[30:31], v[34:35], v[26:27] op_sel:[0,0,1] op_sel_hi:[1,1,0] neg_lo:[0,0,1] neg_hi:[0,0,1]
	v_pk_fma_f32 v[26:27], v[30:31], v[34:35], v[26:27] op_sel:[0,0,1] op_sel_hi:[1,0,0]
	s_waitcnt lgkmcnt(0)
	v_mov_b32_e32 v29, v27
	v_pk_mul_f32 v[26:27], v[32:33], v[38:39] op_sel:[0,1]
	s_barrier
	v_pk_fma_f32 v[34:35], v[32:33], v[38:39], v[26:27] op_sel:[0,0,1] op_sel_hi:[1,1,0] neg_lo:[0,0,1] neg_hi:[0,0,1]
	v_pk_fma_f32 v[26:27], v[32:33], v[38:39], v[26:27] op_sel:[0,0,1] op_sel_hi:[1,0,0]
	s_nop 0
	v_mov_b32_e32 v35, v27
	v_pk_add_f32 v[26:27], v[18:19], v[28:29]
	v_pk_add_f32 v[32:33], v[28:29], v[34:35]
	v_pk_add_f32 v[28:29], v[28:29], v[34:35] neg_lo:[0,1] neg_hi:[0,1]
	v_pk_fma_f32 v[18:19], v[32:33], 0.5, v[18:19] op_sel_hi:[1,0,1] neg_lo:[1,0,0] neg_hi:[1,0,0]
	v_pk_mul_f32 v[28:29], v[28:29], s[4:5] op_sel_hi:[1,0]
	v_pk_add_f32 v[30:31], v[20:21], v[46:47]
	v_pk_add_f32 v[32:33], v[18:19], v[28:29] op_sel:[0,1] op_sel_hi:[1,0]
	v_pk_add_f32 v[18:19], v[18:19], v[28:29] op_sel:[0,1] op_sel_hi:[1,0] neg_lo:[0,1] neg_hi:[0,1]
	v_pk_add_f32 v[26:27], v[26:27], v[34:35]
	v_mov_b32_e32 v29, v19
	v_mov_b32_e32 v19, v33
	ds_write_b64 v57, v[18:19] offset:576
	v_pk_add_f32 v[18:19], v[46:47], v[36:37]
	v_mov_b32_e32 v28, v32
	v_pk_fma_f32 v[18:19], v[18:19], 0.5, v[20:21] op_sel_hi:[1,0,1] neg_lo:[1,0,0] neg_hi:[1,0,0]
	v_pk_add_f32 v[20:21], v[46:47], v[36:37] neg_lo:[0,1] neg_hi:[0,1]
	ds_write2_b64 v57, v[26:27], v[28:29] offset1:36
	v_pk_mul_f32 v[20:21], v[20:21], s[4:5] op_sel_hi:[1,0]
	v_pk_add_f32 v[30:31], v[30:31], v[36:37]
	v_pk_add_f32 v[26:27], v[18:19], v[20:21] op_sel:[0,1] op_sel_hi:[1,0]
	v_pk_add_f32 v[18:19], v[18:19], v[20:21] op_sel:[0,1] op_sel_hi:[1,0] neg_lo:[0,1] neg_hi:[0,1]
	v_mov_b32_e32 v20, v26
	v_mov_b32_e32 v21, v19
	v_mov_b32_e32 v19, v27
	ds_write2_b64 v58, v[30:31], v[20:21] offset1:36
	ds_write_b64 v58, v[18:19] offset:576
	v_pk_add_f32 v[18:19], v[54:55], v[42:43]
	v_pk_add_f32 v[20:21], v[54:55], v[42:43] neg_lo:[0,1] neg_hi:[0,1]
	v_pk_fma_f32 v[18:19], v[18:19], 0.5, v[50:51] op_sel_hi:[1,0,1] neg_lo:[1,0,0] neg_hi:[1,0,0]
	v_pk_mul_f32 v[20:21], v[20:21], s[4:5] op_sel_hi:[1,0]
	v_mov_b32_e32 v30, 19
	v_pk_add_f32 v[26:27], v[18:19], v[20:21] op_sel:[0,1] op_sel_hi:[1,0]
	v_pk_add_f32 v[18:19], v[18:19], v[20:21] op_sel:[0,1] op_sel_hi:[1,0] neg_lo:[0,1] neg_hi:[0,1]
	v_mov_b32_e32 v20, v26
	v_mov_b32_e32 v21, v19
	;; [unrolled: 1-line block ×3, first 2 shown]
	ds_write2_b64 v59, v[24:25], v[20:21] offset1:36
	ds_write_b64 v59, v[18:19] offset:576
	v_pk_add_f32 v[18:19], v[52:53], v[44:45]
	v_pk_add_f32 v[20:21], v[52:53], v[44:45] neg_lo:[0,1] neg_hi:[0,1]
	v_pk_fma_f32 v[18:19], v[18:19], 0.5, v[48:49] op_sel_hi:[1,0,1] neg_lo:[1,0,0] neg_hi:[1,0,0]
	v_pk_mul_f32 v[20:21], v[20:21], s[4:5] op_sel_hi:[1,0]
	v_lshrrev_b16_e32 v26, 2, v14
	v_pk_add_f32 v[24:25], v[18:19], v[20:21] op_sel:[0,1] op_sel_hi:[1,0]
	v_pk_add_f32 v[18:19], v[18:19], v[20:21] op_sel:[0,1] op_sel_hi:[1,0] neg_lo:[0,1] neg_hi:[0,1]
	v_mov_b32_e32 v20, v24
	v_mov_b32_e32 v21, v19
	;; [unrolled: 1-line block ×3, first 2 shown]
	ds_write2_b64 v17, v[22:23], v[20:21] offset1:36
	ds_write_b64 v17, v[18:19] offset:576
	v_lshrrev_b16_e32 v17, 2, v8
	v_mul_u32_u24_e32 v17, 0x4bdb, v17
	v_lshrrev_b32_e32 v17, 19, v17
	v_mul_lo_u16_e32 v18, 0x6c, v17
	v_sub_u16_e32 v46, v8, v18
	v_lshlrev_b32_e32 v18, 4, v46
	s_waitcnt lgkmcnt(0)
	s_barrier
	global_load_dwordx4 v[18:21], v18, s[8:9] offset:816
	v_lshrrev_b16_e32 v22, 2, v0
	v_mul_u32_u24_e32 v22, 0x4bdb, v22
	v_lshrrev_b32_e32 v47, 19, v22
	v_mul_lo_u16_e32 v22, 0x6c, v47
	v_sub_u16_e32 v48, v0, v22
	v_lshlrev_b32_e32 v22, 4, v48
	global_load_dwordx4 v[22:25], v22, s[8:9] offset:816
	v_mul_u32_u24_e32 v26, 0x4bdb, v26
	v_lshrrev_b32_e32 v49, 19, v26
	v_mul_lo_u16_e32 v26, 0x6c, v49
	v_sub_u16_e32 v50, v14, v26
	v_mul_lo_u16_sdwa v30, v6, v30 dst_sel:DWORD dst_unused:UNUSED_PAD src0_sel:BYTE_0 src1_sel:DWORD
	v_lshlrev_b32_e32 v26, 4, v50
	v_lshrrev_b16_e32 v51, 11, v30
	global_load_dwordx4 v[26:29], v26, s[8:9] offset:816
	v_mul_lo_u16_e32 v30, 0x6c, v51
	v_sub_u16_e32 v52, v6, v30
	v_lshlrev_b32_sdwa v30, v56, v52 dst_sel:DWORD dst_unused:UNUSED_PAD src0_sel:DWORD src1_sel:BYTE_0
	global_load_dwordx4 v[30:33], v30, s[8:9] offset:816
	v_mul_u32_u24_e32 v51, 0xa20, v51
	v_lshlrev_b32_sdwa v16, v16, v52 dst_sel:DWORD dst_unused:UNUSED_PAD src0_sel:DWORD src1_sel:BYTE_0
	ds_read2_b64 v[34:37], v10 offset0:12 offset1:255
	ds_read2_b64 v[38:41], v11 offset0:8 offset1:251
	;; [unrolled: 1-line block ×3, first 2 shown]
	v_add3_u32 v56, 0, v51, v16
	v_mul_u32_u24_e32 v16, 0xa20, v49
	v_lshlrev_b32_e32 v49, 3, v50
	v_add3_u32 v57, 0, v16, v49
	v_perm_b32 v16, v17, v47, s11
	v_pk_mul_lo_u16 v16, v16, s12 op_sel_hi:[1,0]
	v_lshlrev_b32_e32 v47, 3, v48
	v_and_b32_e32 v17, 0xffe0, v16
	v_add3_u32 v58, 0, v17, v47
	v_lshrrev_b32_e32 v16, 16, v16
	v_lshlrev_b32_e32 v17, 3, v46
	ds_read2_b64 v[46:49], v13 offset0:6 offset1:249
	v_add3_u32 v59, 0, v16, v17
	s_movk_i32 s11, 0x6523
	s_waitcnt vmcnt(3) lgkmcnt(1)
	v_pk_mul_f32 v[16:17], v[44:45], v[18:19] op_sel:[0,1]
	s_nop 0
	v_pk_fma_f32 v[50:51], v[44:45], v[18:19], v[16:17] op_sel:[0,0,1] op_sel_hi:[1,1,0] neg_lo:[0,0,1] neg_hi:[0,0,1]
	v_pk_fma_f32 v[16:17], v[44:45], v[18:19], v[16:17] op_sel:[0,0,1] op_sel_hi:[1,0,0]
	ds_read_b64 v[44:45], v7
	v_mov_b32_e32 v16, v21
	v_mov_b32_e32 v51, v17
	s_waitcnt lgkmcnt(1)
	v_pk_mul_f32 v[16:17], v[48:49], v[16:17] op_sel_hi:[1,0]
	s_nop 0
	v_pk_fma_f32 v[52:53], v[48:49], v[20:21], v[16:17] op_sel:[0,0,1] op_sel_hi:[1,1,0] neg_lo:[0,0,1] neg_hi:[0,0,1]
	v_pk_fma_f32 v[16:17], v[48:49], v[20:21], v[16:17] op_sel:[0,0,1] op_sel_hi:[1,0,0]
	ds_read_b64 v[20:21], v9
	v_mov_b32_e32 v53, v17
	s_waitcnt lgkmcnt(1)
	v_pk_add_f32 v[16:17], v[44:45], v[50:51]
	s_nop 0
	v_pk_add_f32 v[48:49], v[16:17], v[52:53]
	s_waitcnt vmcnt(2)
	v_pk_mul_f32 v[16:17], v[22:23], v[42:43] op_sel:[0,1]
	s_nop 0
	v_pk_fma_f32 v[54:55], v[22:23], v[42:43], v[16:17] op_sel:[0,0,1] op_sel_hi:[1,1,0] neg_lo:[0,0,1] neg_hi:[0,0,1]
	v_pk_fma_f32 v[16:17], v[22:23], v[42:43], v[16:17] op_sel:[0,0,1] op_sel_hi:[1,0,0]
	s_waitcnt vmcnt(1)
	v_pk_mul_f32 v[42:43], v[26:27], v[36:37] op_sel:[0,1]
	v_mov_b32_e32 v16, v25
	v_mov_b32_e32 v55, v17
	v_pk_mul_f32 v[16:17], v[46:47], v[16:17] op_sel_hi:[1,0]
	s_nop 0
	v_pk_fma_f32 v[22:23], v[46:47], v[24:25], v[16:17] op_sel:[0,0,1] op_sel_hi:[1,1,0] neg_lo:[0,0,1] neg_hi:[0,0,1]
	v_pk_fma_f32 v[16:17], v[46:47], v[24:25], v[16:17] op_sel:[0,0,1] op_sel_hi:[1,0,0]
	v_pk_fma_f32 v[46:47], v[26:27], v[36:37], v[42:43] op_sel:[0,0,1] op_sel_hi:[1,1,0] neg_lo:[0,0,1] neg_hi:[0,0,1]
	v_mov_b32_e32 v23, v17
	s_waitcnt lgkmcnt(0)
	v_pk_add_f32 v[16:17], v[20:21], v[54:55]
	v_pk_fma_f32 v[26:27], v[26:27], v[36:37], v[42:43] op_sel:[0,0,1] op_sel_hi:[1,0,0]
	v_pk_add_f32 v[24:25], v[16:17], v[22:23]
	ds_read2_b64 v[16:19], v12 offset1:243
	v_mov_b32_e32 v47, v27
	v_pk_mul_f32 v[26:27], v[28:29], v[40:41] op_sel:[0,1]
	s_waitcnt lgkmcnt(0)
	v_pk_fma_f32 v[36:37], v[28:29], v[40:41], v[26:27] op_sel:[0,0,1] op_sel_hi:[1,1,0] neg_lo:[0,0,1] neg_hi:[0,0,1]
	v_pk_fma_f32 v[26:27], v[28:29], v[40:41], v[26:27] op_sel:[0,0,1] op_sel_hi:[1,0,0]
	s_waitcnt vmcnt(0)
	v_pk_mul_f32 v[28:29], v[30:31], v[34:35] op_sel:[0,1]
	v_mov_b32_e32 v37, v27
	v_pk_fma_f32 v[40:41], v[30:31], v[34:35], v[28:29] op_sel:[0,0,1] op_sel_hi:[1,1,0] neg_lo:[0,0,1] neg_hi:[0,0,1]
	v_pk_fma_f32 v[28:29], v[30:31], v[34:35], v[28:29] op_sel:[0,0,1] op_sel_hi:[1,0,0]
	s_barrier
	v_mov_b32_e32 v41, v29
	v_pk_mul_f32 v[28:29], v[32:33], v[38:39] op_sel:[0,1]
	s_nop 0
	v_pk_fma_f32 v[30:31], v[32:33], v[38:39], v[28:29] op_sel:[0,0,1] op_sel_hi:[1,1,0] neg_lo:[0,0,1] neg_hi:[0,0,1]
	v_pk_fma_f32 v[28:29], v[32:33], v[38:39], v[28:29] op_sel:[0,0,1] op_sel_hi:[1,0,0]
	v_pk_add_f32 v[26:27], v[18:19], v[46:47]
	v_mov_b32_e32 v31, v29
	v_pk_add_f32 v[28:29], v[16:17], v[40:41]
	v_pk_add_f32 v[32:33], v[40:41], v[30:31]
	;; [unrolled: 1-line block ×3, first 2 shown]
	v_pk_add_f32 v[30:31], v[40:41], v[30:31] neg_lo:[0,1] neg_hi:[0,1]
	v_pk_fma_f32 v[16:17], v[32:33], 0.5, v[16:17] op_sel_hi:[1,0,1] neg_lo:[1,0,0] neg_hi:[1,0,0]
	v_pk_mul_f32 v[30:31], v[30:31], s[4:5] op_sel_hi:[1,0]
	v_pk_add_f32 v[26:27], v[26:27], v[36:37]
	v_pk_add_f32 v[32:33], v[16:17], v[30:31] op_sel:[0,1] op_sel_hi:[1,0]
	v_pk_add_f32 v[16:17], v[16:17], v[30:31] op_sel:[0,1] op_sel_hi:[1,0] neg_lo:[0,1] neg_hi:[0,1]
	v_mov_b32_e32 v30, v32
	v_mov_b32_e32 v31, v17
	;; [unrolled: 1-line block ×3, first 2 shown]
	ds_write_b64 v56, v[16:17] offset:1728
	v_pk_add_f32 v[16:17], v[46:47], v[36:37]
	ds_write2_b64 v56, v[28:29], v[30:31] offset1:108
	v_pk_fma_f32 v[16:17], v[16:17], 0.5, v[18:19] op_sel_hi:[1,0,1] neg_lo:[1,0,0] neg_hi:[1,0,0]
	v_pk_add_f32 v[18:19], v[46:47], v[36:37] neg_lo:[0,1] neg_hi:[0,1]
	s_nop 0
	v_pk_mul_f32 v[18:19], v[18:19], s[4:5] op_sel_hi:[1,0]
	s_nop 0
	v_pk_add_f32 v[28:29], v[16:17], v[18:19] op_sel:[0,1] op_sel_hi:[1,0]
	v_pk_add_f32 v[16:17], v[16:17], v[18:19] op_sel:[0,1] op_sel_hi:[1,0] neg_lo:[0,1] neg_hi:[0,1]
	v_mov_b32_e32 v18, v28
	v_mov_b32_e32 v19, v17
	;; [unrolled: 1-line block ×3, first 2 shown]
	ds_write2_b64 v57, v[26:27], v[18:19] offset1:108
	ds_write_b64 v57, v[16:17] offset:1728
	v_pk_add_f32 v[16:17], v[54:55], v[22:23]
	v_pk_add_f32 v[18:19], v[54:55], v[22:23] neg_lo:[0,1] neg_hi:[0,1]
	v_pk_fma_f32 v[16:17], v[16:17], 0.5, v[20:21] op_sel_hi:[1,0,1] neg_lo:[1,0,0] neg_hi:[1,0,0]
	v_pk_mul_f32 v[18:19], v[18:19], s[4:5] op_sel_hi:[1,0]
	v_add_u32_e32 v28, 0xffffffaf, v6
	v_pk_add_f32 v[20:21], v[16:17], v[18:19] op_sel:[0,1] op_sel_hi:[1,0]
	v_pk_add_f32 v[16:17], v[16:17], v[18:19] op_sel:[0,1] op_sel_hi:[1,0] neg_lo:[0,1] neg_hi:[0,1]
	v_mov_b32_e32 v18, v20
	v_mov_b32_e32 v19, v17
	;; [unrolled: 1-line block ×3, first 2 shown]
	ds_write2_b64 v58, v[24:25], v[18:19] offset1:108
	ds_write_b64 v58, v[16:17] offset:1728
	v_pk_add_f32 v[16:17], v[50:51], v[52:53]
	v_pk_add_f32 v[18:19], v[50:51], v[52:53] neg_lo:[0,1] neg_hi:[0,1]
	v_pk_fma_f32 v[16:17], v[16:17], 0.5, v[44:45] op_sel_hi:[1,0,1] neg_lo:[1,0,0] neg_hi:[1,0,0]
	v_pk_mul_f32 v[18:19], v[18:19], s[4:5] op_sel_hi:[1,0]
	v_lshlrev_b32_e32 v24, 1, v6
	v_pk_add_f32 v[20:21], v[16:17], v[18:19] op_sel:[0,1] op_sel_hi:[1,0]
	v_pk_add_f32 v[16:17], v[16:17], v[18:19] op_sel:[0,1] op_sel_hi:[1,0] neg_lo:[0,1] neg_hi:[0,1]
	v_mov_b32_e32 v18, v20
	v_mov_b32_e32 v19, v17
	;; [unrolled: 1-line block ×3, first 2 shown]
	ds_write_b64 v59, v[16:17] offset:1728
	v_mul_u32_u24_sdwa v16, v8, s11 dst_sel:DWORD dst_unused:UNUSED_PAD src0_sel:WORD_0 src1_sel:DWORD
	v_lshrrev_b32_e32 v16, 23, v16
	v_mul_lo_u16_e32 v16, 0x144, v16
	v_sub_u16_e32 v56, v8, v16
	v_mul_u32_u24_sdwa v20, v0, s11 dst_sel:DWORD dst_unused:UNUSED_PAD src0_sel:WORD_0 src1_sel:DWORD
	v_lshlrev_b32_e32 v16, 4, v56
	v_lshrrev_b32_e32 v57, 23, v20
	ds_write2_b64 v59, v[48:49], v[18:19] offset1:108
	s_waitcnt lgkmcnt(0)
	s_barrier
	global_load_dwordx4 v[16:19], v16, s[8:9] offset:2544
	v_mul_lo_u16_e32 v20, 0x144, v57
	v_sub_u16_e32 v58, v0, v20
	v_lshlrev_b32_e32 v20, 4, v58
	global_load_dwordx4 v[20:23], v20, s[8:9] offset:2544
	v_mov_b32_e32 v25, v1
	v_lshl_add_u64 v[48:49], v[24:25], 3, s[8:9]
	global_load_dwordx4 v[24:27], v[48:49], off offset:2544
	s_movk_i32 s11, 0x51
	v_cmp_gt_u32_e32 vcc, s11, v6
	v_mov_b32_e32 v29, v1
	s_movk_i32 s11, 0x50
	v_cndmask_b32_e32 v59, v28, v14, vcc
	v_lshlrev_b32_e32 v28, 1, v59
	v_lshl_add_u64 v[28:29], v[28:29], 3, s[8:9]
	global_load_dwordx4 v[28:31], v[28:29], off offset:2544
	ds_read2_b64 v[32:35], v15 offset0:2 offset1:245
	ds_read2_b64 v[36:39], v10 offset0:12 offset1:255
	;; [unrolled: 1-line block ×4, first 2 shown]
	v_cmp_lt_u32_e32 vcc, s11, v6
	v_lshlrev_b32_e32 v0, 1, v0
	s_waitcnt vmcnt(3) lgkmcnt(3)
	v_pk_mul_f32 v[50:51], v[34:35], v[16:17] op_sel:[0,1]
	s_nop 0
	v_pk_fma_f32 v[52:53], v[34:35], v[16:17], v[50:51] op_sel:[0,0,1] op_sel_hi:[1,1,0] neg_lo:[0,0,1] neg_hi:[0,0,1]
	v_pk_fma_f32 v[34:35], v[34:35], v[16:17], v[50:51] op_sel:[0,0,1] op_sel_hi:[1,0,0]
	v_mov_b32_e32 v16, v19
	s_waitcnt lgkmcnt(0)
	v_pk_mul_f32 v[16:17], v[46:47], v[16:17] op_sel_hi:[1,0]
	v_mov_b32_e32 v53, v35
	v_pk_fma_f32 v[50:51], v[46:47], v[18:19], v[16:17] op_sel:[0,0,1] op_sel_hi:[1,1,0] neg_lo:[0,0,1] neg_hi:[0,0,1]
	v_pk_fma_f32 v[46:47], v[46:47], v[18:19], v[16:17] op_sel:[0,0,1] op_sel_hi:[1,0,0]
	s_waitcnt vmcnt(2)
	v_pk_mul_f32 v[16:17], v[20:21], v[32:33] op_sel:[0,1]
	ds_read_b64 v[34:35], v9
	v_pk_fma_f32 v[54:55], v[20:21], v[32:33], v[16:17] op_sel:[0,0,1] op_sel_hi:[1,1,0] neg_lo:[0,0,1] neg_hi:[0,0,1]
	v_pk_fma_f32 v[20:21], v[20:21], v[32:33], v[16:17] op_sel:[0,0,1] op_sel_hi:[1,0,0]
	v_mov_b32_e32 v16, v23
	v_pk_mul_f32 v[16:17], v[44:45], v[16:17] op_sel_hi:[1,0]
	v_mov_b32_e32 v20, 0x1e60
	v_pk_fma_f32 v[32:33], v[44:45], v[22:23], v[16:17] op_sel:[0,0,1] op_sel_hi:[1,1,0] neg_lo:[0,0,1] neg_hi:[0,0,1]
	v_pk_fma_f32 v[22:23], v[44:45], v[22:23], v[16:17] op_sel:[0,0,1] op_sel_hi:[1,0,0]
	s_waitcnt vmcnt(1)
	v_pk_mul_f32 v[16:17], v[24:25], v[36:37] op_sel:[0,1]
	v_cndmask_b32_e32 v20, 0, v20, vcc
	v_pk_fma_f32 v[44:45], v[24:25], v[36:37], v[16:17] op_sel:[0,0,1] op_sel_hi:[1,1,0] neg_lo:[0,0,1] neg_hi:[0,0,1]
	v_pk_fma_f32 v[24:25], v[24:25], v[36:37], v[16:17] op_sel:[0,0,1] op_sel_hi:[1,0,0]
	v_pk_mul_f32 v[16:17], v[26:27], v[40:41] op_sel:[0,1]
	v_mov_b32_e32 v45, v25
	v_pk_fma_f32 v[36:37], v[26:27], v[40:41], v[16:17] op_sel:[0,0,1] op_sel_hi:[1,1,0] neg_lo:[0,0,1] neg_hi:[0,0,1]
	v_pk_fma_f32 v[26:27], v[26:27], v[40:41], v[16:17] op_sel:[0,0,1] op_sel_hi:[1,0,0]
	ds_read2_b64 v[16:19], v12 offset1:243
	v_mov_b32_e32 v37, v27
	v_pk_add_f32 v[24:25], v[44:45], v[36:37]
	v_lshlrev_b32_e32 v22, 3, v59
	v_pk_add_f32 v[26:27], v[44:45], v[36:37] neg_lo:[0,1] neg_hi:[0,1]
	s_waitcnt lgkmcnt(0)
	v_pk_fma_f32 v[24:25], v[24:25], 0.5, v[16:17] op_sel_hi:[1,0,1] neg_lo:[1,0,0] neg_hi:[1,0,0]
	v_pk_add_f32 v[16:17], v[16:17], v[44:45]
	v_add3_u32 v44, 0, v20, v22
	v_mul_u32_u24_e32 v20, 0x1e60, v57
	v_lshlrev_b32_e32 v22, 3, v58
	v_add3_u32 v45, 0, v20, v22
	v_mov_b32_e32 v55, v21
	s_waitcnt vmcnt(0)
	v_pk_mul_f32 v[20:21], v[28:29], v[38:39] op_sel:[0,1]
	v_mov_b32_e32 v33, v23
	v_pk_fma_f32 v[22:23], v[28:29], v[38:39], v[20:21] op_sel:[0,0,1] op_sel_hi:[1,1,0] neg_lo:[0,0,1] neg_hi:[0,0,1]
	v_pk_fma_f32 v[20:21], v[28:29], v[38:39], v[20:21] op_sel:[0,0,1] op_sel_hi:[1,0,0]
	v_pk_mul_f32 v[26:27], v[26:27], s[4:5] op_sel_hi:[1,0]
	v_mov_b32_e32 v23, v21
	v_pk_mul_f32 v[20:21], v[30:31], v[42:43] op_sel:[0,1]
	v_pk_add_f32 v[40:41], v[24:25], v[26:27] op_sel:[0,1] op_sel_hi:[1,0]
	v_pk_add_f32 v[24:25], v[24:25], v[26:27] op_sel:[0,1] op_sel_hi:[1,0] neg_lo:[0,1] neg_hi:[0,1]
	v_pk_add_f32 v[16:17], v[16:17], v[36:37]
	v_pk_fma_f32 v[38:39], v[30:31], v[42:43], v[20:21] op_sel:[0,0,1] op_sel_hi:[1,1,0] neg_lo:[0,0,1] neg_hi:[0,0,1]
	v_pk_fma_f32 v[20:21], v[30:31], v[42:43], v[20:21] op_sel:[0,0,1] op_sel_hi:[1,0,0]
	ds_read_b64 v[26:27], v7
	v_mov_b32_e32 v39, v21
	s_waitcnt lgkmcnt(0)
	s_barrier
	ds_write_b64 v12, v[16:17]
	v_mov_b32_e32 v16, v40
	v_mov_b32_e32 v17, v25
	ds_write_b64 v12, v[16:17] offset:2592
	v_pk_add_f32 v[16:17], v[22:23], v[38:39]
	v_pk_add_f32 v[20:21], v[18:19], v[22:23]
	v_pk_fma_f32 v[16:17], v[16:17], 0.5, v[18:19] op_sel_hi:[1,0,1] neg_lo:[1,0,0] neg_hi:[1,0,0]
	v_pk_add_f32 v[18:19], v[22:23], v[38:39] neg_lo:[0,1] neg_hi:[0,1]
	v_pk_add_f32 v[20:21], v[20:21], v[38:39]
	v_mov_b32_e32 v25, v41
	v_pk_mul_f32 v[18:19], v[18:19], s[4:5] op_sel_hi:[1,0]
	ds_write_b64 v12, v[24:25] offset:5184
	ds_write_b64 v44, v[20:21]
	v_pk_add_f32 v[20:21], v[16:17], v[18:19] op_sel:[0,1] op_sel_hi:[1,0]
	v_pk_add_f32 v[16:17], v[16:17], v[18:19] op_sel:[0,1] op_sel_hi:[1,0] neg_lo:[0,1] neg_hi:[0,1]
	v_pk_add_f32 v[28:29], v[34:35], v[54:55]
	v_mov_b32_e32 v18, v20
	v_mov_b32_e32 v19, v17
	;; [unrolled: 1-line block ×3, first 2 shown]
	v_pk_add_f32 v[28:29], v[28:29], v[32:33]
	ds_write_b64 v44, v[18:19] offset:2592
	ds_write_b64 v44, v[16:17] offset:5184
	ds_write_b64 v45, v[28:29]
	v_pk_add_f32 v[16:17], v[54:55], v[32:33]
	v_pk_add_f32 v[18:19], v[54:55], v[32:33] neg_lo:[0,1] neg_hi:[0,1]
	v_pk_fma_f32 v[16:17], v[16:17], 0.5, v[34:35] op_sel_hi:[1,0,1] neg_lo:[1,0,0] neg_hi:[1,0,0]
	v_pk_mul_f32 v[18:19], v[18:19], s[4:5] op_sel_hi:[1,0]
	v_mov_b32_e32 v51, v47
	v_pk_add_f32 v[20:21], v[16:17], v[18:19] op_sel:[0,1] op_sel_hi:[1,0]
	v_pk_add_f32 v[16:17], v[16:17], v[18:19] op_sel:[0,1] op_sel_hi:[1,0] neg_lo:[0,1] neg_hi:[0,1]
	v_pk_add_f32 v[36:37], v[26:27], v[52:53]
	v_mov_b32_e32 v18, v20
	v_mov_b32_e32 v19, v17
	;; [unrolled: 1-line block ×3, first 2 shown]
	v_lshl_add_u32 v46, v56, 3, 0
	v_pk_add_f32 v[36:37], v[36:37], v[50:51]
	ds_write_b64 v45, v[18:19] offset:2592
	ds_write_b64 v45, v[16:17] offset:5184
	;; [unrolled: 1-line block ×3, first 2 shown]
	v_pk_add_f32 v[16:17], v[52:53], v[50:51]
	v_pk_add_f32 v[18:19], v[52:53], v[50:51] neg_lo:[0,1] neg_hi:[0,1]
	v_pk_fma_f32 v[16:17], v[16:17], 0.5, v[26:27] op_sel_hi:[1,0,1] neg_lo:[1,0,0] neg_hi:[1,0,0]
	v_pk_mul_f32 v[18:19], v[18:19], s[4:5] op_sel_hi:[1,0]
	v_lshl_add_u64 v[24:25], v[0:1], 3, s[8:9]
	v_pk_add_f32 v[20:21], v[16:17], v[18:19] op_sel:[0,1] op_sel_hi:[1,0]
	v_pk_add_f32 v[16:17], v[16:17], v[18:19] op_sel:[0,1] op_sel_hi:[1,0] neg_lo:[0,1] neg_hi:[0,1]
	v_mov_b32_e32 v18, v20
	v_mov_b32_e32 v19, v17
	v_mov_b32_e32 v17, v21
	ds_write_b64 v46, v[16:17] offset:20736
	v_add_co_u32_e32 v16, vcc, s10, v48
	ds_write_b64 v46, v[18:19] offset:18144
	s_nop 0
	v_addc_co_u32_e32 v17, vcc, 0, v49, vcc
	s_waitcnt lgkmcnt(0)
	s_barrier
	global_load_dwordx4 v[16:19], v[16:17], off offset:3632
	v_lshlrev_b32_e32 v20, 1, v14
	v_mov_b32_e32 v21, v1
	v_lshl_add_u64 v[20:21], v[20:21], 3, s[8:9]
	v_add_co_u32_e32 v20, vcc, s10, v20
	v_lshlrev_b32_e32 v0, 1, v8
	s_nop 0
	v_addc_co_u32_e32 v21, vcc, 0, v21, vcc
	global_load_dwordx4 v[20:23], v[20:21], off offset:3632
	v_add_co_u32_e32 v24, vcc, s10, v24
	v_lshl_add_u64 v[28:29], v[0:1], 3, s[8:9]
	s_nop 0
	v_addc_co_u32_e32 v25, vcc, 0, v25, vcc
	global_load_dwordx4 v[24:27], v[24:25], off offset:3632
	v_add_co_u32_e32 v28, vcc, s10, v28
	s_nop 1
	v_addc_co_u32_e32 v29, vcc, 0, v29, vcc
	global_load_dwordx4 v[28:31], v[28:29], off offset:3632
	ds_read2_b64 v[32:35], v10 offset0:12 offset1:255
	ds_read2_b64 v[36:39], v11 offset0:8 offset1:251
	;; [unrolled: 1-line block ×3, first 2 shown]
	ds_read2_b64 v[44:47], v12 offset1:243
	s_waitcnt vmcnt(3) lgkmcnt(3)
	v_pk_mul_f32 v[14:15], v[16:17], v[32:33] op_sel:[0,1]
	s_nop 0
	v_pk_fma_f32 v[48:49], v[16:17], v[32:33], v[14:15] op_sel:[0,0,1] op_sel_hi:[1,1,0] neg_lo:[0,0,1] neg_hi:[0,0,1]
	v_pk_fma_f32 v[14:15], v[16:17], v[32:33], v[14:15] op_sel:[0,0,1] op_sel_hi:[1,0,0]
	s_waitcnt vmcnt(1)
	v_mov_b32_e32 v0, v27
	v_mov_b32_e32 v49, v15
	s_waitcnt lgkmcnt(2)
	v_pk_mul_f32 v[14:15], v[18:19], v[36:37] op_sel:[0,1]
	s_nop 0
	v_pk_fma_f32 v[32:33], v[18:19], v[36:37], v[14:15] op_sel:[0,0,1] op_sel_hi:[1,1,0] neg_lo:[0,0,1] neg_hi:[0,0,1]
	v_pk_fma_f32 v[14:15], v[18:19], v[36:37], v[14:15] op_sel:[0,0,1] op_sel_hi:[1,0,0]
	s_nop 0
	v_mov_b32_e32 v33, v15
	s_waitcnt lgkmcnt(0)
	v_pk_add_f32 v[14:15], v[44:45], v[48:49]
	s_nop 0
	v_pk_add_f32 v[18:19], v[14:15], v[32:33]
	v_pk_mul_f32 v[14:15], v[20:21], v[34:35] op_sel:[0,1]
	s_nop 0
	v_pk_fma_f32 v[36:37], v[20:21], v[34:35], v[14:15] op_sel:[0,0,1] op_sel_hi:[1,1,0] neg_lo:[0,0,1] neg_hi:[0,0,1]
	v_pk_fma_f32 v[14:15], v[20:21], v[34:35], v[14:15] op_sel:[0,0,1] op_sel_hi:[1,0,0]
	v_pk_mul_f32 v[34:35], v[24:25], v[40:41] op_sel:[0,1]
	v_mov_b32_e32 v37, v15
	v_pk_mul_f32 v[14:15], v[22:23], v[38:39] op_sel:[0,1]
	s_nop 0
	v_pk_fma_f32 v[20:21], v[22:23], v[38:39], v[14:15] op_sel:[0,0,1] op_sel_hi:[1,1,0] neg_lo:[0,0,1] neg_hi:[0,0,1]
	v_pk_fma_f32 v[14:15], v[22:23], v[38:39], v[14:15] op_sel:[0,0,1] op_sel_hi:[1,0,0]
	v_pk_fma_f32 v[38:39], v[24:25], v[40:41], v[34:35] op_sel:[0,0,1] op_sel_hi:[1,1,0] neg_lo:[0,0,1] neg_hi:[0,0,1]
	v_mov_b32_e32 v21, v15
	v_pk_add_f32 v[14:15], v[46:47], v[36:37]
	v_pk_fma_f32 v[24:25], v[24:25], v[40:41], v[34:35] op_sel:[0,0,1] op_sel_hi:[1,0,0]
	v_pk_add_f32 v[22:23], v[14:15], v[20:21]
	ds_read2_b64 v[14:17], v13 offset0:6 offset1:249
	v_mov_b32_e32 v39, v25
	ds_read_b64 v[34:35], v9
	s_waitcnt lgkmcnt(1)
	v_pk_mul_f32 v[24:25], v[14:15], v[0:1] op_sel_hi:[1,0]
	s_nop 0
	v_pk_fma_f32 v[40:41], v[14:15], v[26:27], v[24:25] op_sel:[0,0,1] op_sel_hi:[1,1,0] neg_lo:[0,0,1] neg_hi:[0,0,1]
	v_pk_fma_f32 v[14:15], v[14:15], v[26:27], v[24:25] op_sel:[0,0,1] op_sel_hi:[1,0,0]
	s_waitcnt vmcnt(0)
	v_pk_mul_f32 v[26:27], v[42:43], v[28:29] op_sel:[0,1]
	v_mov_b32_e32 v0, v31
	v_pk_fma_f32 v[50:51], v[42:43], v[28:29], v[26:27] op_sel:[0,0,1] op_sel_hi:[1,1,0] neg_lo:[0,0,1] neg_hi:[0,0,1]
	v_pk_fma_f32 v[26:27], v[42:43], v[28:29], v[26:27] op_sel:[0,0,1] op_sel_hi:[1,0,0]
	v_mov_b32_e32 v41, v15
	ds_read_b64 v[14:15], v7
	v_mov_b32_e32 v51, v27
	v_pk_mul_f32 v[26:27], v[16:17], v[0:1] op_sel_hi:[1,0]
	s_waitcnt lgkmcnt(0)
	v_pk_fma_f32 v[28:29], v[16:17], v[30:31], v[26:27] op_sel:[0,0,1] op_sel_hi:[1,1,0] neg_lo:[0,0,1] neg_hi:[0,0,1]
	v_pk_fma_f32 v[16:17], v[16:17], v[30:31], v[26:27] op_sel:[0,0,1] op_sel_hi:[1,0,0]
	s_barrier
	v_pk_add_f32 v[26:27], v[48:49], v[32:33]
	v_pk_add_f32 v[30:31], v[48:49], v[32:33] neg_lo:[0,1] neg_hi:[0,1]
	ds_write2_b64 v12, v[18:19], v[22:23] offset1:243
	v_pk_add_f32 v[12:13], v[36:37], v[20:21]
	v_pk_add_f32 v[18:19], v[36:37], v[20:21] neg_lo:[0,1] neg_hi:[0,1]
	v_pk_fma_f32 v[26:27], v[26:27], 0.5, v[44:45] op_sel_hi:[1,0,1] neg_lo:[1,0,0] neg_hi:[1,0,0]
	v_pk_mul_f32 v[30:31], v[30:31], s[4:5] op_sel_hi:[1,0]
	v_pk_fma_f32 v[12:13], v[12:13], 0.5, v[46:47] op_sel_hi:[1,0,1] neg_lo:[1,0,0] neg_hi:[1,0,0]
	v_pk_mul_f32 v[18:19], v[18:19], s[4:5] op_sel_hi:[1,0]
	v_pk_add_f32 v[32:33], v[26:27], v[30:31] op_sel:[0,1] op_sel_hi:[1,0]
	v_pk_add_f32 v[26:27], v[26:27], v[30:31] op_sel:[0,1] op_sel_hi:[1,0] neg_lo:[0,1] neg_hi:[0,1]
	v_pk_add_f32 v[20:21], v[12:13], v[18:19] op_sel:[0,1] op_sel_hi:[1,0]
	v_pk_add_f32 v[12:13], v[12:13], v[18:19] op_sel:[0,1] op_sel_hi:[1,0] neg_lo:[0,1] neg_hi:[0,1]
	v_pk_add_f32 v[24:25], v[34:35], v[38:39]
	v_mov_b32_e32 v30, v32
	v_mov_b32_e32 v31, v27
	;; [unrolled: 1-line block ×6, first 2 shown]
	v_pk_add_f32 v[24:25], v[24:25], v[40:41]
	ds_write2_b64 v10, v[30:31], v[18:19] offset0:12 offset1:255
	ds_write2_b64 v11, v[26:27], v[12:13] offset0:8 offset1:251
	ds_write_b64 v9, v[24:25]
	v_pk_add_f32 v[10:11], v[38:39], v[40:41]
	v_pk_add_f32 v[12:13], v[38:39], v[40:41] neg_lo:[0,1] neg_hi:[0,1]
	v_pk_fma_f32 v[10:11], v[10:11], 0.5, v[34:35] op_sel_hi:[1,0,1] neg_lo:[1,0,0] neg_hi:[1,0,0]
	v_pk_mul_f32 v[12:13], v[12:13], s[4:5] op_sel_hi:[1,0]
	v_mov_b32_e32 v29, v17
	v_pk_add_f32 v[18:19], v[10:11], v[12:13] op_sel:[0,1] op_sel_hi:[1,0]
	v_pk_add_f32 v[10:11], v[10:11], v[12:13] op_sel:[0,1] op_sel_hi:[1,0] neg_lo:[0,1] neg_hi:[0,1]
	v_pk_add_f32 v[16:17], v[14:15], v[50:51]
	v_mov_b32_e32 v12, v18
	v_mov_b32_e32 v13, v11
	;; [unrolled: 1-line block ×3, first 2 shown]
	v_pk_add_f32 v[16:17], v[16:17], v[28:29]
	ds_write_b64 v9, v[12:13] offset:7776
	ds_write_b64 v9, v[10:11] offset:15552
	ds_write_b64 v7, v[16:17]
	v_pk_add_f32 v[8:9], v[50:51], v[28:29]
	v_pk_add_f32 v[10:11], v[50:51], v[28:29] neg_lo:[0,1] neg_hi:[0,1]
	v_pk_fma_f32 v[8:9], v[8:9], 0.5, v[14:15] op_sel_hi:[1,0,1] neg_lo:[1,0,0] neg_hi:[1,0,0]
	v_pk_mul_f32 v[10:11], v[10:11], s[4:5] op_sel_hi:[1,0]
	s_nop 0
	v_pk_add_f32 v[12:13], v[8:9], v[10:11] op_sel:[0,1] op_sel_hi:[1,0]
	v_pk_add_f32 v[8:9], v[8:9], v[10:11] op_sel:[0,1] op_sel_hi:[1,0] neg_lo:[0,1] neg_hi:[0,1]
	v_mov_b32_e32 v10, v12
	v_mov_b32_e32 v11, v9
	;; [unrolled: 1-line block ×3, first 2 shown]
	ds_write_b64 v7, v[10:11] offset:7776
	ds_write_b64 v7, v[8:9] offset:15552
	s_waitcnt lgkmcnt(0)
	s_barrier
	s_and_saveexec_b64 s[4:5], s[0:1]
	s_cbranch_execz .LBB0_21
; %bb.20:
	v_lshl_add_u32 v14, v6, 3, 0
	v_mul_lo_u32 v0, s3, v4
	v_mul_lo_u32 v7, s2, v5
	v_mad_u64_u32 v[4:5], s[0:1], s2, v4, 0
	ds_read2_b64 v[8:11], v14 offset1:243
	v_add3_u32 v5, v5, v7, v0
	v_lshl_add_u64 v[4:5], v[4:5], 3, s[6:7]
	v_mov_b32_e32 v7, v1
	v_lshl_add_u64 v[12:13], v[2:3], 3, v[4:5]
	v_lshl_add_u64 v[2:3], v[6:7], 3, v[12:13]
	s_waitcnt lgkmcnt(0)
	global_store_dwordx2 v[2:3], v[8:9], off
	v_add_u32_e32 v2, 0xf00, v14
	ds_read2_b64 v[2:5], v2 offset0:6 offset1:249
	v_add_u32_e32 v0, 0xf3, v6
	v_lshl_add_u64 v[8:9], v[0:1], 3, v[12:13]
	v_add_u32_e32 v0, 0x1e6, v6
	global_store_dwordx2 v[8:9], v[10:11], off
	v_lshl_add_u64 v[8:9], v[0:1], 3, v[12:13]
	s_waitcnt lgkmcnt(0)
	global_store_dwordx2 v[8:9], v[2:3], off
	v_add_u32_e32 v2, 0x1e00, v14
	ds_read2_b64 v[8:11], v2 offset0:12 offset1:255
	v_add_u32_e32 v0, 0x2d9, v6
	v_lshl_add_u64 v[2:3], v[0:1], 3, v[12:13]
	v_add_u32_e32 v0, 0x3cc, v6
	global_store_dwordx2 v[2:3], v[4:5], off
	;; [unrolled: 9-line block ×5, first 2 shown]
	v_lshl_add_u64 v[8:9], v[0:1], 3, v[12:13]
	v_add_u32_e32 v0, 0xa71, v6
	v_lshl_add_u64 v[0:1], v[0:1], 3, v[12:13]
	s_waitcnt lgkmcnt(0)
	global_store_dwordx2 v[8:9], v[2:3], off
	global_store_dwordx2 v[0:1], v[4:5], off
.LBB0_21:
	s_endpgm
	.section	.rodata,"a",@progbits
	.p2align	6, 0x0
	.amdhsa_kernel fft_rtc_fwd_len2916_factors_6_6_3_3_3_3_wgs_243_tpt_243_halfLds_sp_op_CI_CI_unitstride_sbrr_C2R_dirReg
		.amdhsa_group_segment_fixed_size 0
		.amdhsa_private_segment_fixed_size 0
		.amdhsa_kernarg_size 104
		.amdhsa_user_sgpr_count 2
		.amdhsa_user_sgpr_dispatch_ptr 0
		.amdhsa_user_sgpr_queue_ptr 0
		.amdhsa_user_sgpr_kernarg_segment_ptr 1
		.amdhsa_user_sgpr_dispatch_id 0
		.amdhsa_user_sgpr_kernarg_preload_length 0
		.amdhsa_user_sgpr_kernarg_preload_offset 0
		.amdhsa_user_sgpr_private_segment_size 0
		.amdhsa_uses_dynamic_stack 0
		.amdhsa_enable_private_segment 0
		.amdhsa_system_sgpr_workgroup_id_x 1
		.amdhsa_system_sgpr_workgroup_id_y 0
		.amdhsa_system_sgpr_workgroup_id_z 0
		.amdhsa_system_sgpr_workgroup_info 0
		.amdhsa_system_vgpr_workitem_id 0
		.amdhsa_next_free_vgpr 60
		.amdhsa_next_free_sgpr 28
		.amdhsa_accum_offset 60
		.amdhsa_reserve_vcc 1
		.amdhsa_float_round_mode_32 0
		.amdhsa_float_round_mode_16_64 0
		.amdhsa_float_denorm_mode_32 3
		.amdhsa_float_denorm_mode_16_64 3
		.amdhsa_dx10_clamp 1
		.amdhsa_ieee_mode 1
		.amdhsa_fp16_overflow 0
		.amdhsa_tg_split 0
		.amdhsa_exception_fp_ieee_invalid_op 0
		.amdhsa_exception_fp_denorm_src 0
		.amdhsa_exception_fp_ieee_div_zero 0
		.amdhsa_exception_fp_ieee_overflow 0
		.amdhsa_exception_fp_ieee_underflow 0
		.amdhsa_exception_fp_ieee_inexact 0
		.amdhsa_exception_int_div_zero 0
	.end_amdhsa_kernel
	.text
.Lfunc_end0:
	.size	fft_rtc_fwd_len2916_factors_6_6_3_3_3_3_wgs_243_tpt_243_halfLds_sp_op_CI_CI_unitstride_sbrr_C2R_dirReg, .Lfunc_end0-fft_rtc_fwd_len2916_factors_6_6_3_3_3_3_wgs_243_tpt_243_halfLds_sp_op_CI_CI_unitstride_sbrr_C2R_dirReg
                                        ; -- End function
	.section	.AMDGPU.csdata,"",@progbits
; Kernel info:
; codeLenInByte = 8884
; NumSgprs: 34
; NumVgprs: 60
; NumAgprs: 0
; TotalNumVgprs: 60
; ScratchSize: 0
; MemoryBound: 0
; FloatMode: 240
; IeeeMode: 1
; LDSByteSize: 0 bytes/workgroup (compile time only)
; SGPRBlocks: 4
; VGPRBlocks: 7
; NumSGPRsForWavesPerEU: 34
; NumVGPRsForWavesPerEU: 60
; AccumOffset: 60
; Occupancy: 8
; WaveLimiterHint : 1
; COMPUTE_PGM_RSRC2:SCRATCH_EN: 0
; COMPUTE_PGM_RSRC2:USER_SGPR: 2
; COMPUTE_PGM_RSRC2:TRAP_HANDLER: 0
; COMPUTE_PGM_RSRC2:TGID_X_EN: 1
; COMPUTE_PGM_RSRC2:TGID_Y_EN: 0
; COMPUTE_PGM_RSRC2:TGID_Z_EN: 0
; COMPUTE_PGM_RSRC2:TIDIG_COMP_CNT: 0
; COMPUTE_PGM_RSRC3_GFX90A:ACCUM_OFFSET: 14
; COMPUTE_PGM_RSRC3_GFX90A:TG_SPLIT: 0
	.text
	.p2alignl 6, 3212836864
	.fill 256, 4, 3212836864
	.type	__hip_cuid_3d0fe6967b3cf71b,@object ; @__hip_cuid_3d0fe6967b3cf71b
	.section	.bss,"aw",@nobits
	.globl	__hip_cuid_3d0fe6967b3cf71b
__hip_cuid_3d0fe6967b3cf71b:
	.byte	0                               ; 0x0
	.size	__hip_cuid_3d0fe6967b3cf71b, 1

	.ident	"AMD clang version 19.0.0git (https://github.com/RadeonOpenCompute/llvm-project roc-6.4.0 25133 c7fe45cf4b819c5991fe208aaa96edf142730f1d)"
	.section	".note.GNU-stack","",@progbits
	.addrsig
	.addrsig_sym __hip_cuid_3d0fe6967b3cf71b
	.amdgpu_metadata
---
amdhsa.kernels:
  - .agpr_count:     0
    .args:
      - .actual_access:  read_only
        .address_space:  global
        .offset:         0
        .size:           8
        .value_kind:     global_buffer
      - .offset:         8
        .size:           8
        .value_kind:     by_value
      - .actual_access:  read_only
        .address_space:  global
        .offset:         16
        .size:           8
        .value_kind:     global_buffer
      - .actual_access:  read_only
        .address_space:  global
        .offset:         24
        .size:           8
        .value_kind:     global_buffer
      - .actual_access:  read_only
        .address_space:  global
        .offset:         32
        .size:           8
        .value_kind:     global_buffer
      - .offset:         40
        .size:           8
        .value_kind:     by_value
      - .actual_access:  read_only
        .address_space:  global
        .offset:         48
        .size:           8
        .value_kind:     global_buffer
      - .actual_access:  read_only
        .address_space:  global
        .offset:         56
        .size:           8
        .value_kind:     global_buffer
      - .offset:         64
        .size:           4
        .value_kind:     by_value
      - .actual_access:  read_only
        .address_space:  global
        .offset:         72
        .size:           8
        .value_kind:     global_buffer
      - .actual_access:  read_only
        .address_space:  global
        .offset:         80
        .size:           8
        .value_kind:     global_buffer
      - .actual_access:  read_only
        .address_space:  global
        .offset:         88
        .size:           8
        .value_kind:     global_buffer
      - .actual_access:  write_only
        .address_space:  global
        .offset:         96
        .size:           8
        .value_kind:     global_buffer
    .group_segment_fixed_size: 0
    .kernarg_segment_align: 8
    .kernarg_segment_size: 104
    .language:       OpenCL C
    .language_version:
      - 2
      - 0
    .max_flat_workgroup_size: 243
    .name:           fft_rtc_fwd_len2916_factors_6_6_3_3_3_3_wgs_243_tpt_243_halfLds_sp_op_CI_CI_unitstride_sbrr_C2R_dirReg
    .private_segment_fixed_size: 0
    .sgpr_count:     34
    .sgpr_spill_count: 0
    .symbol:         fft_rtc_fwd_len2916_factors_6_6_3_3_3_3_wgs_243_tpt_243_halfLds_sp_op_CI_CI_unitstride_sbrr_C2R_dirReg.kd
    .uniform_work_group_size: 1
    .uses_dynamic_stack: false
    .vgpr_count:     60
    .vgpr_spill_count: 0
    .wavefront_size: 64
amdhsa.target:   amdgcn-amd-amdhsa--gfx950
amdhsa.version:
  - 1
  - 2
...

	.end_amdgpu_metadata
